;; amdgpu-corpus repo=ROCm/rocFFT kind=compiled arch=gfx1100 opt=O3
	.text
	.amdgcn_target "amdgcn-amd-amdhsa--gfx1100"
	.amdhsa_code_object_version 6
	.protected	bluestein_single_back_len1700_dim1_dp_op_CI_CI ; -- Begin function bluestein_single_back_len1700_dim1_dp_op_CI_CI
	.globl	bluestein_single_back_len1700_dim1_dp_op_CI_CI
	.p2align	8
	.type	bluestein_single_back_len1700_dim1_dp_op_CI_CI,@function
bluestein_single_back_len1700_dim1_dp_op_CI_CI: ; @bluestein_single_back_len1700_dim1_dp_op_CI_CI
; %bb.0:
	s_load_b128 s[4:7], s[0:1], 0x28
	v_mul_u32_u24_e32 v1, 0x182, v0
	s_mov_b32 s2, exec_lo
	v_mov_b32_e32 v4, 0
	s_delay_alu instid0(VALU_DEP_2) | instskip(NEXT) | instid1(VALU_DEP_1)
	v_lshrrev_b32_e32 v1, 16, v1
	v_add_nc_u32_e32 v3, s15, v1
	s_delay_alu instid0(VALU_DEP_1)
	v_mov_b32_e32 v2, v3
	scratch_store_b64 off, v[2:3], off      ; 8-byte Folded Spill
	s_waitcnt lgkmcnt(0)
	v_cmpx_gt_u64_e64 s[4:5], v[3:4]
	s_cbranch_execz .LBB0_15
; %bb.1:
	s_clause 0x1
	s_load_b64 s[12:13], s[0:1], 0x0
	s_load_b64 s[14:15], s[0:1], 0x38
	v_mul_lo_u16 v1, 0xaa, v1
	s_delay_alu instid0(VALU_DEP_1) | instskip(NEXT) | instid1(VALU_DEP_1)
	v_sub_nc_u16 v0, v0, v1
	v_and_b32_e32 v156, 0xffff, v0
	v_cmp_gt_u16_e32 vcc_lo, 0x64, v0
	s_delay_alu instid0(VALU_DEP_2)
	v_lshlrev_b32_e32 v255, 4, v156
	s_and_saveexec_b32 s3, vcc_lo
	s_cbranch_execz .LBB0_3
; %bb.2:
	s_load_b64 s[4:5], s[0:1], 0x18
	s_waitcnt lgkmcnt(0)
	v_add_co_u32 v14, s2, s12, v255
	s_delay_alu instid0(VALU_DEP_1) | instskip(NEXT) | instid1(VALU_DEP_2)
	v_add_co_ci_u32_e64 v15, null, s13, 0, s2
	v_add_co_u32 v20, s2, 0x1000, v14
	s_delay_alu instid0(VALU_DEP_1) | instskip(SKIP_1) | instid1(VALU_DEP_1)
	v_add_co_ci_u32_e64 v21, s2, 0, v15, s2
	v_add_co_u32 v28, s2, 0x2000, v14
	v_add_co_ci_u32_e64 v29, s2, 0, v15, s2
	v_add_co_u32 v42, s2, 0x3000, v14
	s_delay_alu instid0(VALU_DEP_1)
	v_add_co_ci_u32_e64 v43, s2, 0, v15, s2
	v_add_co_u32 v48, s2, 0x4000, v14
	s_load_b128 s[8:11], s[4:5], 0x0
	s_clause 0x2
	global_load_b128 v[0:3], v255, s[12:13]
	global_load_b128 v[4:7], v255, s[12:13] offset:1600
	global_load_b128 v[8:11], v255, s[12:13] offset:3200
	scratch_load_b64 v[12:13], off, off     ; 8-byte Folded Reload
	v_add_co_ci_u32_e64 v49, s2, 0, v15, s2
	v_add_co_u32 v120, s2, 0x5000, v14
	s_delay_alu instid0(VALU_DEP_1) | instskip(SKIP_1) | instid1(VALU_DEP_1)
	v_add_co_ci_u32_e64 v121, s2, 0, v15, s2
	v_add_co_u32 v128, s2, 0x6000, v14
	v_add_co_ci_u32_e64 v129, s2, 0, v15, s2
	s_waitcnt lgkmcnt(0)
	v_mad_u64_u32 v[40:41], null, s8, v156, 0
	s_mul_i32 s4, s9, 0x640
	s_mul_hi_u32 s5, s8, 0x640
	s_delay_alu instid0(SALU_CYCLE_1) | instskip(SKIP_1) | instid1(VALU_DEP_1)
	s_add_i32 s5, s5, s4
	s_waitcnt vmcnt(0)
	v_mov_b32_e32 v13, v41
	s_delay_alu instid0(VALU_DEP_1) | instskip(NEXT) | instid1(VALU_DEP_1)
	v_mad_u64_u32 v[34:35], null, s9, v156, v[13:14]
	v_mov_b32_e32 v41, v34
	s_delay_alu instid0(VALU_DEP_1) | instskip(SKIP_1) | instid1(VALU_DEP_1)
	v_lshlrev_b64 v[40:41], 4, v[40:41]
	v_mov_b32_e32 v16, v12
	v_mad_u64_u32 v[32:33], null, s10, v16, 0
	s_delay_alu instid0(VALU_DEP_1) | instskip(NEXT) | instid1(VALU_DEP_1)
	v_mov_b32_e32 v12, v33
	v_mad_u64_u32 v[22:23], null, s11, v16, v[12:13]
	s_clause 0x1
	global_load_b128 v[12:15], v[20:21], off offset:704
	global_load_b128 v[16:19], v[20:21], off offset:2304
	v_mov_b32_e32 v33, v22
	s_clause 0x2
	global_load_b128 v[20:23], v[20:21], off offset:3904
	global_load_b128 v[24:27], v[28:29], off offset:1408
	;; [unrolled: 1-line block ×3, first 2 shown]
	v_lshlrev_b64 v[44:45], 4, v[32:33]
	s_clause 0x1
	global_load_b128 v[32:35], v[42:43], off offset:512
	global_load_b128 v[36:39], v[42:43], off offset:2112
	v_add_co_u32 v44, s2, s6, v44
	s_delay_alu instid0(VALU_DEP_1) | instskip(SKIP_1) | instid1(VALU_DEP_2)
	v_add_co_ci_u32_e64 v45, s2, s7, v45, s2
	s_mul_i32 s6, s8, 0x640
	v_add_co_u32 v60, s2, v44, v40
	s_delay_alu instid0(VALU_DEP_1) | instskip(SKIP_2) | instid1(VALU_DEP_1)
	v_add_co_ci_u32_e64 v61, s2, v45, v41, s2
	global_load_b128 v[40:43], v[42:43], off offset:3712
	v_add_co_u32 v64, s2, v60, s6
	v_add_co_ci_u32_e64 v65, s2, s5, v61, s2
	s_clause 0x1
	global_load_b128 v[44:47], v[48:49], off offset:1216
	global_load_b128 v[48:51], v[48:49], off offset:2816
	v_add_co_u32 v68, s2, v64, s6
	s_delay_alu instid0(VALU_DEP_1) | instskip(SKIP_4) | instid1(VALU_DEP_1)
	v_add_co_ci_u32_e64 v69, s2, s5, v65, s2
	s_clause 0x1
	global_load_b128 v[52:55], v[120:121], off offset:320
	global_load_b128 v[56:59], v[120:121], off offset:1920
	v_add_co_u32 v72, s2, v68, s6
	v_add_co_ci_u32_e64 v73, s2, s5, v69, s2
	s_clause 0x1
	global_load_b128 v[60:63], v[60:61], off
	global_load_b128 v[64:67], v[64:65], off
	v_add_co_u32 v76, s2, v72, s6
	s_delay_alu instid0(VALU_DEP_1) | instskip(SKIP_4) | instid1(VALU_DEP_1)
	v_add_co_ci_u32_e64 v77, s2, s5, v73, s2
	s_clause 0x1
	global_load_b128 v[68:71], v[68:69], off
	global_load_b128 v[72:75], v[72:73], off
	v_add_co_u32 v80, s2, v76, s6
	v_add_co_ci_u32_e64 v81, s2, s5, v77, s2
	global_load_b128 v[76:79], v[76:77], off
	v_add_co_u32 v84, s2, v80, s6
	s_delay_alu instid0(VALU_DEP_1) | instskip(SKIP_2) | instid1(VALU_DEP_1)
	v_add_co_ci_u32_e64 v85, s2, s5, v81, s2
	global_load_b128 v[80:83], v[80:81], off
	v_add_co_u32 v88, s2, v84, s6
	v_add_co_ci_u32_e64 v89, s2, s5, v85, s2
	global_load_b128 v[84:87], v[84:85], off
	v_add_co_u32 v92, s2, v88, s6
	s_delay_alu instid0(VALU_DEP_1) | instskip(SKIP_2) | instid1(VALU_DEP_1)
	v_add_co_ci_u32_e64 v93, s2, s5, v89, s2
	;; [unrolled: 7-line block ×5, first 2 shown]
	global_load_b128 v[112:115], v[112:113], off
	v_add_co_u32 v124, s2, v116, s6
	v_add_co_ci_u32_e64 v125, s2, s5, v117, s2
	s_delay_alu instid0(VALU_DEP_2) | instskip(NEXT) | instid1(VALU_DEP_1)
	v_add_co_u32 v132, s2, v124, s6
	v_add_co_ci_u32_e64 v133, s2, s5, v125, s2
	global_load_b128 v[116:119], v[116:117], off
	global_load_b128 v[120:123], v[120:121], off offset:3520
	global_load_b128 v[124:127], v[124:125], off
	global_load_b128 v[128:131], v[128:129], off offset:1024
	global_load_b128 v[132:135], v[132:133], off
	s_waitcnt vmcnt(18)
	v_mul_f64 v[136:137], v[62:63], v[2:3]
	v_mul_f64 v[2:3], v[60:61], v[2:3]
	s_waitcnt vmcnt(17)
	v_mul_f64 v[138:139], v[66:67], v[6:7]
	v_mul_f64 v[6:7], v[64:65], v[6:7]
	;; [unrolled: 3-line block ×17, first 2 shown]
	v_fma_f64 v[58:59], v[60:61], v[0:1], v[136:137]
	v_fma_f64 v[60:61], v[62:63], v[0:1], -v[2:3]
	v_fma_f64 v[0:1], v[64:65], v[4:5], v[138:139]
	v_fma_f64 v[2:3], v[66:67], v[4:5], -v[6:7]
	;; [unrolled: 2-line block ×17, first 2 shown]
	ds_store_b128 v255, v[58:61]
	ds_store_b128 v255, v[0:3] offset:1600
	ds_store_b128 v255, v[4:7] offset:3200
	;; [unrolled: 1-line block ×16, first 2 shown]
.LBB0_3:
	s_or_b32 exec_lo, exec_lo, s3
	s_load_b64 s[2:3], s[0:1], 0x20
	s_waitcnt lgkmcnt(0)
	s_waitcnt_vscnt null, 0x0
	s_barrier
	buffer_gl0_inv
                                        ; implicit-def: $vgpr28_vgpr29
                                        ; implicit-def: $vgpr48_vgpr49
                                        ; implicit-def: $vgpr52_vgpr53
                                        ; implicit-def: $vgpr56_vgpr57
                                        ; implicit-def: $vgpr60_vgpr61
                                        ; implicit-def: $vgpr64_vgpr65
                                        ; implicit-def: $vgpr68_vgpr69
                                        ; implicit-def: $vgpr72_vgpr73
                                        ; implicit-def: $vgpr80_vgpr81
                                        ; implicit-def: $vgpr84_vgpr85
                                        ; implicit-def: $vgpr88_vgpr89
                                        ; implicit-def: $vgpr92_vgpr93
                                        ; implicit-def: $vgpr76_vgpr77
                                        ; implicit-def: $vgpr44_vgpr45
                                        ; implicit-def: $vgpr40_vgpr41
                                        ; implicit-def: $vgpr36_vgpr37
                                        ; implicit-def: $vgpr32_vgpr33
	s_and_saveexec_b32 s4, vcc_lo
	s_cbranch_execz .LBB0_5
; %bb.4:
	ds_load_b128 v[28:31], v255
	ds_load_b128 v[48:51], v255 offset:1600
	ds_load_b128 v[52:55], v255 offset:3200
	;; [unrolled: 1-line block ×16, first 2 shown]
.LBB0_5:
	s_or_b32 exec_lo, exec_lo, s4
	s_waitcnt lgkmcnt(0)
	v_add_f64 v[128:129], v[50:51], -v[34:35]
	v_add_f64 v[142:143], v[54:55], -v[38:39]
	s_mov_b32 s8, 0x5d8e7cdc
	s_mov_b32 s18, 0x2a9d6da3
	;; [unrolled: 1-line block ×4, first 2 shown]
	v_add_f64 v[124:125], v[48:49], v[32:33]
	v_add_f64 v[157:158], v[52:53], -v[36:37]
	s_mov_b32 s4, 0x370991
	s_mov_b32 s38, 0x4363dd80
	;; [unrolled: 1-line block ×6, first 2 shown]
	v_add_f64 v[96:97], v[52:53], v[36:37]
	s_mov_b32 s6, 0x75d4884
	s_mov_b32 s7, 0x3fe7a5f6
	v_add_f64 v[171:172], v[48:49], -v[32:33]
	v_add_f64 v[165:166], v[50:51], v[34:35]
	v_add_f64 v[100:101], v[54:55], v[38:39]
	v_add_f64 v[163:164], v[58:59], -v[42:43]
	s_mov_b32 s28, 0x7c9e640b
	s_mov_b32 s29, 0xbfeca52d
	v_add_f64 v[104:105], v[56:57], v[40:41]
	s_mov_b32 s10, 0x2b2883cd
	s_mov_b32 s30, 0xeb564b22
	;; [unrolled: 1-line block ×4, first 2 shown]
	v_add_f64 v[169:170], v[56:57], -v[40:41]
	v_add_f64 v[112:113], v[58:59], v[42:43]
	s_mov_b32 s36, 0x6c9a05f6
	s_mov_b32 s37, 0xbfe9895b
	v_add_f64 v[173:174], v[62:63], -v[46:47]
	v_add_f64 v[108:109], v[60:61], v[44:45]
	s_mov_b32 s16, 0x3259b75e
	s_mov_b32 s17, 0x3fb79ee6
	v_add_f64 v[175:176], v[60:61], -v[44:45]
	v_add_f64 v[120:121], v[62:63], v[46:47]
	v_mul_f64 v[0:1], v[128:129], s[8:9]
	v_mul_f64 v[2:3], v[142:143], s[18:19]
	;; [unrolled: 1-line block ×5, first 2 shown]
	s_mov_b32 s42, 0xacd6c6b4
	s_mov_b32 s43, 0xbfc7851a
	v_mul_f64 v[4:5], v[157:158], s[18:19]
	v_mul_f64 v[8:9], v[157:158], s[30:31]
	v_add_f64 v[177:178], v[66:67], -v[78:79]
	v_mul_f64 v[14:15], v[142:143], s[42:43]
	s_mov_b32 s34, 0x923c349f
	s_mov_b32 s35, 0xbfeec746
	v_add_f64 v[116:117], v[64:65], v[76:77]
	s_mov_b32 s20, 0xc61f0d01
	s_mov_b32 s21, 0xbfd183b1
	v_add_f64 v[179:180], v[64:65], -v[76:77]
	v_mul_f64 v[12:13], v[157:158], s[36:37]
	v_add_f64 v[134:135], v[66:67], v[78:79]
	s_mov_b32 s45, 0x3feec746
	s_mov_b32 s44, s34
	v_add_f64 v[181:182], v[70:71], -v[94:95]
	v_mul_f64 v[22:23], v[142:143], s[44:45]
	;; [unrolled: 5-line block ×5, first 2 shown]
	v_add_f64 v[152:153], v[74:75], v[90:91]
	s_clause 0x2
	scratch_store_b64 off, v[2:3], off offset:8
	scratch_store_b64 off, v[0:1], off offset:124
	;; [unrolled: 1-line block ×3, first 2 shown]
	v_fma_f64 v[0:1], v[124:125], s[4:5], v[0:1]
	v_fma_f64 v[2:3], v[96:97], s[6:7], v[2:3]
	v_add_f64 v[203:204], v[82:83], -v[86:87]
	scratch_store_b64 off, v[4:5], off offset:24 ; 8-byte Folded Spill
	v_fma_f64 v[4:5], v[100:101], s[6:7], -v[4:5]
	v_add_f64 v[148:149], v[80:81], v[84:85]
	s_mov_b32 s26, 0x7faef3
	s_mov_b32 s27, 0xbfef7484
	v_add_f64 v[209:210], v[80:81], -v[84:85]
	v_mul_f64 v[24:25], v[157:158], s[44:45]
	v_add_f64 v[159:160], v[82:83], v[86:87]
	v_mul_f64 v[114:115], v[128:129], s[18:19]
	v_mul_f64 v[126:127], v[171:172], s[18:19]
	s_mov_b32 s47, 0x3fd71e95
	s_mov_b32 s46, s8
	v_mul_f64 v[132:133], v[128:129], s[28:29]
	v_mul_f64 v[136:137], v[171:172], s[28:29]
	s_mov_b32 s53, 0x3fc7851a
	s_mov_b32 s52, s42
	;; [unrolled: 1-line block ×4, first 2 shown]
	v_mul_f64 v[140:141], v[128:129], s[30:31]
	v_mul_f64 v[217:218], v[183:184], s[8:9]
	;; [unrolled: 1-line block ×6, first 2 shown]
	s_mov_b32 s55, 0x3fe9895b
	s_mov_b32 s54, s36
	v_mul_f64 v[150:151], v[128:129], s[34:35]
	v_fma_f64 v[18:19], v[96:97], s[24:25], v[18:19]
	v_mul_f64 v[154:155], v[171:172], s[34:35]
	v_mul_f64 v[215:216], v[175:176], s[28:29]
	;; [unrolled: 1-line block ×4, first 2 shown]
	s_mov_b32 s57, 0x3fefdd0d
	s_mov_b32 s56, s30
	v_mul_f64 v[219:220], v[191:192], s[8:9]
	v_add_f64 v[0:1], v[28:29], v[0:1]
	v_mul_f64 v[227:228], v[181:182], s[56:57]
	v_mul_f64 v[102:103], v[183:184], s[56:57]
	;; [unrolled: 1-line block ×27, first 2 shown]
	s_load_b64 s[0:1], s[0:1], 0x8
	scratch_store_b64 off, v[6:7], off offset:228 ; 8-byte Folded Spill
	v_fma_f64 v[6:7], v[96:97], s[16:17], v[6:7]
	scratch_store_b64 off, v[8:9], off offset:252 ; 8-byte Folded Spill
	v_fma_f64 v[8:9], v[100:101], s[16:17], -v[8:9]
	scratch_store_b64 off, v[14:15], off offset:364 ; 8-byte Folded Spill
	v_fma_f64 v[14:15], v[96:97], s[26:27], v[14:15]
	scratch_store_b64 off, v[10:11], off offset:300 ; 8-byte Folded Spill
	v_fma_f64 v[10:11], v[96:97], s[22:23], v[10:11]
	scratch_store_b64 off, v[12:13], off offset:356 ; 8-byte Folded Spill
	v_add_f64 v[0:1], v[2:3], v[0:1]
	v_mul_f64 v[2:3], v[171:172], s[8:9]
	v_fma_f64 v[12:13], v[100:101], s[22:23], -v[12:13]
	scratch_store_b64 off, v[16:17], off offset:428 ; 8-byte Folded Spill
	v_fma_f64 v[16:17], v[100:101], s[26:27], -v[16:17]
	scratch_store_b64 off, v[20:21], off offset:516 ; 8-byte Folded Spill
	v_fma_f64 v[20:21], v[100:101], s[24:25], -v[20:21]
	scratch_store_b64 off, v[22:23], off offset:468 ; 8-byte Folded Spill
	v_fma_f64 v[22:23], v[96:97], s[20:21], v[22:23]
	scratch_store_b64 off, v[24:25], off offset:620 ; 8-byte Folded Spill
	v_fma_f64 v[24:25], v[100:101], s[20:21], -v[24:25]
	scratch_store_b64 off, v[26:27], off offset:548 ; 8-byte Folded Spill
	v_fma_f64 v[26:27], v[96:97], s[10:11], v[26:27]
	v_fma_f64 v[98:99], v[100:101], s[10:11], -v[213:214]
	scratch_store_b64 off, v[2:3], off offset:220 ; 8-byte Folded Spill
	v_fma_f64 v[2:3], v[165:166], s[4:5], -v[2:3]
	s_delay_alu instid0(VALU_DEP_1) | instskip(NEXT) | instid1(VALU_DEP_1)
	v_add_f64 v[2:3], v[30:31], v[2:3]
	v_add_f64 v[2:3], v[4:5], v[2:3]
	v_mul_f64 v[4:5], v[163:164], s[28:29]
	scratch_store_b64 off, v[4:5], off offset:40 ; 8-byte Folded Spill
	v_fma_f64 v[4:5], v[104:105], s[10:11], v[4:5]
	s_delay_alu instid0(VALU_DEP_1) | instskip(SKIP_3) | instid1(VALU_DEP_1)
	v_add_f64 v[0:1], v[4:5], v[0:1]
	v_mul_f64 v[4:5], v[169:170], s[28:29]
	scratch_store_b64 off, v[4:5], off offset:72 ; 8-byte Folded Spill
	v_fma_f64 v[4:5], v[112:113], s[10:11], -v[4:5]
	v_add_f64 v[2:3], v[4:5], v[2:3]
	v_mul_f64 v[4:5], v[173:174], s[30:31]
	scratch_store_b64 off, v[4:5], off offset:56 ; 8-byte Folded Spill
	v_fma_f64 v[4:5], v[108:109], s[16:17], v[4:5]
	s_delay_alu instid0(VALU_DEP_1) | instskip(SKIP_3) | instid1(VALU_DEP_1)
	v_add_f64 v[0:1], v[4:5], v[0:1]
	v_mul_f64 v[4:5], v[175:176], s[30:31]
	scratch_store_b64 off, v[4:5], off offset:104 ; 8-byte Folded Spill
	v_fma_f64 v[4:5], v[120:121], s[16:17], -v[4:5]
	;; [unrolled: 9-line block ×6, first 2 shown]
	v_add_f64 v[2:3], v[4:5], v[2:3]
	v_fma_f64 v[4:5], v[124:125], s[6:7], v[114:115]
	s_delay_alu instid0(VALU_DEP_1) | instskip(NEXT) | instid1(VALU_DEP_1)
	v_add_f64 v[4:5], v[28:29], v[4:5]
	v_add_f64 v[4:5], v[6:7], v[4:5]
	v_fma_f64 v[6:7], v[165:166], s[6:7], -v[126:127]
	s_delay_alu instid0(VALU_DEP_1) | instskip(NEXT) | instid1(VALU_DEP_1)
	v_add_f64 v[6:7], v[30:31], v[6:7]
	v_add_f64 v[6:7], v[8:9], v[6:7]
	v_mul_f64 v[8:9], v[163:164], s[36:37]
	scratch_store_b64 off, v[8:9], off offset:236 ; 8-byte Folded Spill
	v_fma_f64 v[8:9], v[104:105], s[22:23], v[8:9]
	s_delay_alu instid0(VALU_DEP_1) | instskip(SKIP_3) | instid1(VALU_DEP_1)
	v_add_f64 v[4:5], v[8:9], v[4:5]
	v_mul_f64 v[8:9], v[169:170], s[36:37]
	scratch_store_b64 off, v[8:9], off offset:268 ; 8-byte Folded Spill
	v_fma_f64 v[8:9], v[112:113], s[22:23], -v[8:9]
	v_add_f64 v[6:7], v[8:9], v[6:7]
	v_mul_f64 v[8:9], v[173:174], s[42:43]
	scratch_store_b64 off, v[8:9], off offset:244 ; 8-byte Folded Spill
	v_fma_f64 v[8:9], v[108:109], s[26:27], v[8:9]
	s_delay_alu instid0(VALU_DEP_1) | instskip(SKIP_3) | instid1(VALU_DEP_1)
	v_add_f64 v[4:5], v[8:9], v[4:5]
	v_mul_f64 v[8:9], v[175:176], s[42:43]
	scratch_store_b64 off, v[8:9], off offset:292 ; 8-byte Folded Spill
	v_fma_f64 v[8:9], v[120:121], s[26:27], -v[8:9]
	;; [unrolled: 9-line block ×6, first 2 shown]
	v_add_f64 v[6:7], v[8:9], v[6:7]
	v_fma_f64 v[8:9], v[124:125], s[10:11], v[132:133]
	s_delay_alu instid0(VALU_DEP_1) | instskip(NEXT) | instid1(VALU_DEP_1)
	v_add_f64 v[8:9], v[28:29], v[8:9]
	v_add_f64 v[8:9], v[10:11], v[8:9]
	v_fma_f64 v[10:11], v[165:166], s[10:11], -v[136:137]
	s_delay_alu instid0(VALU_DEP_1) | instskip(NEXT) | instid1(VALU_DEP_1)
	v_add_f64 v[10:11], v[30:31], v[10:11]
	v_add_f64 v[10:11], v[12:13], v[10:11]
	v_mul_f64 v[12:13], v[163:164], s[52:53]
	scratch_store_b64 off, v[12:13], off offset:324 ; 8-byte Folded Spill
	v_fma_f64 v[12:13], v[104:105], s[26:27], v[12:13]
	s_delay_alu instid0(VALU_DEP_1) | instskip(SKIP_3) | instid1(VALU_DEP_1)
	v_add_f64 v[8:9], v[12:13], v[8:9]
	v_mul_f64 v[12:13], v[169:170], s[52:53]
	scratch_store_b64 off, v[12:13], off offset:388 ; 8-byte Folded Spill
	v_fma_f64 v[12:13], v[112:113], s[26:27], -v[12:13]
	v_add_f64 v[10:11], v[12:13], v[10:11]
	v_mul_f64 v[12:13], v[173:174], s[44:45]
	scratch_store_b64 off, v[12:13], off offset:348 ; 8-byte Folded Spill
	v_fma_f64 v[12:13], v[108:109], s[20:21], v[12:13]
	s_delay_alu instid0(VALU_DEP_1) | instskip(SKIP_3) | instid1(VALU_DEP_1)
	v_add_f64 v[8:9], v[12:13], v[8:9]
	v_mul_f64 v[12:13], v[175:176], s[44:45]
	scratch_store_b64 off, v[12:13], off offset:452 ; 8-byte Folded Spill
	v_fma_f64 v[12:13], v[120:121], s[20:21], -v[12:13]
	;; [unrolled: 9-line block ×3, first 2 shown]
	v_add_f64 v[10:11], v[12:13], v[10:11]
	v_mul_f64 v[12:13], v[181:182], s[8:9]
	scratch_store_b64 off, v[12:13], off offset:540 ; 8-byte Folded Spill
	v_fma_f64 v[12:13], v[130:131], s[4:5], v[12:13]
	s_delay_alu instid0(VALU_DEP_1) | instskip(SKIP_1) | instid1(VALU_DEP_1)
	v_add_f64 v[8:9], v[12:13], v[8:9]
	v_fma_f64 v[12:13], v[144:145], s[4:5], -v[217:218]
	v_add_f64 v[10:11], v[12:13], v[10:11]
	v_mul_f64 v[12:13], v[185:186], s[30:31]
	scratch_store_b64 off, v[12:13], off offset:436 ; 8-byte Folded Spill
	v_fma_f64 v[12:13], v[138:139], s[16:17], v[12:13]
	s_delay_alu instid0(VALU_DEP_1) | instskip(SKIP_3) | instid1(VALU_DEP_1)
	v_add_f64 v[8:9], v[12:13], v[8:9]
	v_mul_f64 v[12:13], v[191:192], s[30:31]
	scratch_store_b64 off, v[12:13], off offset:492 ; 8-byte Folded Spill
	v_fma_f64 v[12:13], v[152:153], s[16:17], -v[12:13]
	v_add_f64 v[10:11], v[12:13], v[10:11]
	v_mul_f64 v[12:13], v[203:204], s[38:39]
	scratch_store_b64 off, v[12:13], off offset:420 ; 8-byte Folded Spill
	v_fma_f64 v[12:13], v[148:149], s[24:25], v[12:13]
	s_delay_alu instid0(VALU_DEP_1) | instskip(SKIP_3) | instid1(VALU_DEP_1)
	v_add_f64 v[8:9], v[12:13], v[8:9]
	v_mul_f64 v[12:13], v[209:210], s[38:39]
	scratch_store_b64 off, v[12:13], off offset:484 ; 8-byte Folded Spill
	v_fma_f64 v[12:13], v[159:160], s[24:25], -v[12:13]
	v_add_f64 v[10:11], v[12:13], v[10:11]
	v_fma_f64 v[12:13], v[124:125], s[16:17], v[140:141]
	s_delay_alu instid0(VALU_DEP_1) | instskip(NEXT) | instid1(VALU_DEP_1)
	v_add_f64 v[12:13], v[28:29], v[12:13]
	v_add_f64 v[12:13], v[14:15], v[12:13]
	v_fma_f64 v[14:15], v[165:166], s[16:17], -v[146:147]
	s_delay_alu instid0(VALU_DEP_1) | instskip(NEXT) | instid1(VALU_DEP_1)
	v_add_f64 v[14:15], v[30:31], v[14:15]
	v_add_f64 v[14:15], v[16:17], v[14:15]
	v_mul_f64 v[16:17], v[163:164], s[44:45]
	scratch_store_b64 off, v[16:17], off offset:396 ; 8-byte Folded Spill
	v_fma_f64 v[16:17], v[104:105], s[20:21], v[16:17]
	s_delay_alu instid0(VALU_DEP_1) | instskip(SKIP_3) | instid1(VALU_DEP_1)
	v_add_f64 v[12:13], v[16:17], v[12:13]
	v_mul_f64 v[16:17], v[169:170], s[44:45]
	scratch_store_b64 off, v[16:17], off offset:508 ; 8-byte Folded Spill
	v_fma_f64 v[16:17], v[112:113], s[20:21], -v[16:17]
	v_add_f64 v[14:15], v[16:17], v[14:15]
	v_mul_f64 v[16:17], v[173:174], s[46:47]
	scratch_store_b64 off, v[16:17], off offset:412 ; 8-byte Folded Spill
	v_fma_f64 v[16:17], v[108:109], s[4:5], v[16:17]
	s_delay_alu instid0(VALU_DEP_1) | instskip(SKIP_3) | instid1(VALU_DEP_1)
	v_add_f64 v[12:13], v[16:17], v[12:13]
	v_mul_f64 v[16:17], v[175:176], s[46:47]
	scratch_store_b64 off, v[16:17], off offset:588 ; 8-byte Folded Spill
	v_fma_f64 v[16:17], v[120:121], s[4:5], -v[16:17]
	v_add_f64 v[14:15], v[16:17], v[14:15]
	v_mul_f64 v[16:17], v[177:178], s[28:29]
	scratch_store_b64 off, v[16:17], off offset:532 ; 8-byte Folded Spill
	v_fma_f64 v[16:17], v[116:117], s[10:11], v[16:17]
	s_delay_alu instid0(VALU_DEP_1) | instskip(SKIP_1) | instid1(VALU_DEP_1)
	v_add_f64 v[12:13], v[16:17], v[12:13]
	v_fma_f64 v[16:17], v[134:135], s[10:11], -v[207:208]
	v_add_f64 v[14:15], v[16:17], v[14:15]
	v_fma_f64 v[16:17], v[130:131], s[24:25], v[195:196]
	s_delay_alu instid0(VALU_DEP_1) | instskip(SKIP_1) | instid1(VALU_DEP_1)
	v_add_f64 v[12:13], v[16:17], v[12:13]
	v_fma_f64 v[16:17], v[144:145], s[24:25], -v[233:234]
	v_add_f64 v[14:15], v[16:17], v[14:15]
	v_mul_f64 v[16:17], v[185:186], s[54:55]
	scratch_store_b64 off, v[16:17], off offset:524 ; 8-byte Folded Spill
	v_fma_f64 v[16:17], v[138:139], s[22:23], v[16:17]
	s_delay_alu instid0(VALU_DEP_1) | instskip(SKIP_3) | instid1(VALU_DEP_1)
	v_add_f64 v[12:13], v[16:17], v[12:13]
	v_mul_f64 v[16:17], v[191:192], s[54:55]
	scratch_store_b64 off, v[16:17], off offset:596 ; 8-byte Folded Spill
	v_fma_f64 v[16:17], v[152:153], s[22:23], -v[16:17]
	v_add_f64 v[14:15], v[16:17], v[14:15]
	v_mul_f64 v[16:17], v[203:204], s[50:51]
	scratch_store_b64 off, v[16:17], off offset:500 ; 8-byte Folded Spill
	v_fma_f64 v[16:17], v[148:149], s[6:7], v[16:17]
	s_delay_alu instid0(VALU_DEP_1) | instskip(SKIP_3) | instid1(VALU_DEP_1)
	v_add_f64 v[12:13], v[16:17], v[12:13]
	v_mul_f64 v[16:17], v[209:210], s[50:51]
	scratch_store_b64 off, v[16:17], off offset:580 ; 8-byte Folded Spill
	v_fma_f64 v[16:17], v[159:160], s[6:7], -v[16:17]
	v_add_f64 v[14:15], v[16:17], v[14:15]
	v_fma_f64 v[16:17], v[124:125], s[20:21], v[150:151]
	s_delay_alu instid0(VALU_DEP_1) | instskip(NEXT) | instid1(VALU_DEP_1)
	v_add_f64 v[16:17], v[28:29], v[16:17]
	v_add_f64 v[16:17], v[18:19], v[16:17]
	v_fma_f64 v[18:19], v[165:166], s[20:21], -v[154:155]
	s_delay_alu instid0(VALU_DEP_1) | instskip(NEXT) | instid1(VALU_DEP_1)
	v_add_f64 v[18:19], v[30:31], v[18:19]
	v_add_f64 v[18:19], v[20:21], v[18:19]
	v_mul_f64 v[20:21], v[163:164], s[50:51]
	scratch_store_b64 off, v[20:21], off offset:460 ; 8-byte Folded Spill
	v_fma_f64 v[20:21], v[104:105], s[6:7], v[20:21]
	s_delay_alu instid0(VALU_DEP_1) | instskip(SKIP_3) | instid1(VALU_DEP_1)
	v_add_f64 v[16:17], v[20:21], v[16:17]
	v_mul_f64 v[20:21], v[169:170], s[50:51]
	scratch_store_b64 off, v[20:21], off offset:612 ; 8-byte Folded Spill
	v_fma_f64 v[20:21], v[112:113], s[6:7], -v[20:21]
	v_add_f64 v[18:19], v[20:21], v[18:19]
	v_mul_f64 v[20:21], v[173:174], s[28:29]
	scratch_store_b64 off, v[20:21], off offset:476 ; 8-byte Folded Spill
	v_fma_f64 v[20:21], v[108:109], s[10:11], v[20:21]
	s_delay_alu instid0(VALU_DEP_1) | instskip(SKIP_1) | instid1(VALU_DEP_1)
	v_add_f64 v[16:17], v[20:21], v[16:17]
	v_fma_f64 v[20:21], v[120:121], s[10:11], -v[215:216]
	v_add_f64 v[18:19], v[20:21], v[18:19]
	v_fma_f64 v[20:21], v[116:117], s[26:27], v[199:200]
	s_delay_alu instid0(VALU_DEP_1) | instskip(SKIP_1) | instid1(VALU_DEP_1)
	v_add_f64 v[16:17], v[20:21], v[16:17]
	v_fma_f64 v[20:21], v[134:135], s[26:27], -v[241:242]
	v_add_f64 v[18:19], v[20:21], v[18:19]
	;; [unrolled: 5-line block ×3, first 2 shown]
	v_mul_f64 v[20:21], v[185:186], s[8:9]
	scratch_store_b64 off, v[20:21], off offset:628 ; 8-byte Folded Spill
	v_fma_f64 v[20:21], v[138:139], s[4:5], v[20:21]
	s_delay_alu instid0(VALU_DEP_1) | instskip(SKIP_1) | instid1(VALU_DEP_1)
	v_add_f64 v[16:17], v[20:21], v[16:17]
	v_fma_f64 v[20:21], v[152:153], s[4:5], -v[219:220]
	v_add_f64 v[18:19], v[20:21], v[18:19]
	v_mul_f64 v[20:21], v[203:204], s[36:37]
	scratch_store_b64 off, v[20:21], off offset:604 ; 8-byte Folded Spill
	v_fma_f64 v[20:21], v[148:149], s[22:23], v[20:21]
	s_delay_alu instid0(VALU_DEP_1) | instskip(SKIP_1) | instid1(VALU_DEP_1)
	v_add_f64 v[16:17], v[20:21], v[16:17]
	v_fma_f64 v[20:21], v[159:160], s[22:23], -v[211:212]
	v_add_f64 v[18:19], v[20:21], v[18:19]
	v_fma_f64 v[20:21], v[124:125], s[22:23], v[161:162]
	s_delay_alu instid0(VALU_DEP_1) | instskip(NEXT) | instid1(VALU_DEP_1)
	v_add_f64 v[20:21], v[28:29], v[20:21]
	v_add_f64 v[20:21], v[22:23], v[20:21]
	v_fma_f64 v[22:23], v[165:166], s[22:23], -v[167:168]
	s_delay_alu instid0(VALU_DEP_1) | instskip(NEXT) | instid1(VALU_DEP_1)
	v_add_f64 v[22:23], v[30:31], v[22:23]
	v_add_f64 v[22:23], v[24:25], v[22:23]
	v_mul_f64 v[24:25], v[163:164], s[8:9]
	scratch_store_b64 off, v[24:25], off offset:556 ; 8-byte Folded Spill
	v_fma_f64 v[24:25], v[104:105], s[4:5], v[24:25]
	s_delay_alu instid0(VALU_DEP_1) | instskip(SKIP_1) | instid1(VALU_DEP_1)
	v_add_f64 v[20:21], v[24:25], v[20:21]
	v_fma_f64 v[24:25], v[112:113], s[4:5], -v[223:224]
	v_add_f64 v[22:23], v[24:25], v[22:23]
	v_mul_f64 v[24:25], v[173:174], s[38:39]
	scratch_store_b64 off, v[24:25], off offset:564 ; 8-byte Folded Spill
	v_fma_f64 v[24:25], v[108:109], s[24:25], v[24:25]
	s_waitcnt lgkmcnt(0)
	s_waitcnt_vscnt null, 0x0
	s_barrier
	buffer_gl0_inv
	v_add_f64 v[20:21], v[24:25], v[20:21]
	v_fma_f64 v[24:25], v[120:121], s[24:25], -v[243:244]
	s_delay_alu instid0(VALU_DEP_1) | instskip(SKIP_1) | instid1(VALU_DEP_1)
	v_add_f64 v[22:23], v[24:25], v[22:23]
	v_fma_f64 v[24:25], v[116:117], s[16:17], v[225:226]
	v_add_f64 v[20:21], v[24:25], v[20:21]
	v_fma_f64 v[24:25], v[134:135], s[16:17], -v[253:254]
	s_delay_alu instid0(VALU_DEP_1) | instskip(SKIP_1) | instid1(VALU_DEP_1)
	v_add_f64 v[22:23], v[24:25], v[22:23]
	v_fma_f64 v[24:25], v[130:131], s[6:7], v[247:248]
	v_add_f64 v[20:21], v[24:25], v[20:21]
	v_fma_f64 v[24:25], v[144:145], s[6:7], -v[118:119]
	s_delay_alu instid0(VALU_DEP_1) | instskip(SKIP_1) | instid1(VALU_DEP_1)
	v_add_f64 v[22:23], v[24:25], v[22:23]
	v_fma_f64 v[24:25], v[138:139], s[26:27], v[221:222]
	v_add_f64 v[20:21], v[24:25], v[20:21]
	v_fma_f64 v[24:25], v[152:153], s[26:27], -v[235:236]
	s_delay_alu instid0(VALU_DEP_1) | instskip(SKIP_1) | instid1(VALU_DEP_1)
	v_add_f64 v[22:23], v[24:25], v[22:23]
	v_fma_f64 v[24:25], v[148:149], s[10:11], v[205:206]
	v_add_f64 v[20:21], v[24:25], v[20:21]
	v_fma_f64 v[24:25], v[159:160], s[10:11], -v[231:232]
	s_delay_alu instid0(VALU_DEP_1) | instskip(SKIP_1) | instid1(VALU_DEP_1)
	v_add_f64 v[22:23], v[24:25], v[22:23]
	v_fma_f64 v[24:25], v[124:125], s[24:25], v[187:188]
	v_add_f64 v[24:25], v[28:29], v[24:25]
	s_delay_alu instid0(VALU_DEP_1) | instskip(SKIP_1) | instid1(VALU_DEP_1)
	v_add_f64 v[24:25], v[26:27], v[24:25]
	v_fma_f64 v[26:27], v[165:166], s[24:25], -v[189:190]
	v_add_f64 v[26:27], v[30:31], v[26:27]
	s_delay_alu instid0(VALU_DEP_1) | instskip(SKIP_1) | instid1(VALU_DEP_1)
	v_add_f64 v[26:27], v[98:99], v[26:27]
	v_fma_f64 v[98:99], v[104:105], s[16:17], v[197:198]
	v_add_f64 v[24:25], v[98:99], v[24:25]
	v_fma_f64 v[98:99], v[112:113], s[16:17], -v[239:240]
	s_delay_alu instid0(VALU_DEP_1) | instskip(SKIP_1) | instid1(VALU_DEP_1)
	v_add_f64 v[26:27], v[98:99], v[26:27]
	v_fma_f64 v[98:99], v[108:109], s[22:23], v[201:202]
	v_add_f64 v[24:25], v[98:99], v[24:25]
	v_fma_f64 v[98:99], v[120:121], s[22:23], -v[251:252]
	;; [unrolled: 5-line block ×4, first 2 shown]
	s_delay_alu instid0(VALU_DEP_1) | instskip(SKIP_1) | instid1(VALU_DEP_1)
	v_add_f64 v[26:27], v[98:99], v[26:27]
	v_fma_f64 v[98:99], v[138:139], s[6:7], v[237:238]
	v_add_f64 v[24:25], v[98:99], v[24:25]
	v_mul_f64 v[98:99], v[191:192], s[50:51]
	s_delay_alu instid0(VALU_DEP_1) | instskip(NEXT) | instid1(VALU_DEP_1)
	v_fma_f64 v[229:230], v[152:153], s[6:7], -v[98:99]
	v_add_f64 v[26:27], v[229:230], v[26:27]
	v_mul_f64 v[229:230], v[203:204], s[34:35]
	s_delay_alu instid0(VALU_DEP_1) | instskip(NEXT) | instid1(VALU_DEP_1)
	v_fma_f64 v[249:250], v[148:149], s[20:21], v[229:230]
	v_add_f64 v[24:25], v[249:250], v[24:25]
	v_mul_f64 v[249:250], v[209:210], s[34:35]
	s_delay_alu instid0(VALU_DEP_1) | instskip(NEXT) | instid1(VALU_DEP_1)
	v_fma_f64 v[193:194], v[159:160], s[20:21], -v[249:250]
	v_add_f64 v[26:27], v[193:194], v[26:27]
	v_mul_lo_u16 v193, v156, 17
	scratch_store_b32 off, v193, off offset:120 ; 4-byte Folded Spill
	s_and_saveexec_b32 s33, vcc_lo
	s_cbranch_execz .LBB0_7
; %bb.6:
	v_add_f64 v[48:49], v[28:29], v[48:49]
	v_add_f64 v[50:51], v[30:31], v[50:51]
	s_delay_alu instid0(VALU_DEP_2) | instskip(NEXT) | instid1(VALU_DEP_2)
	v_add_f64 v[48:49], v[48:49], v[52:53]
	v_add_f64 v[50:51], v[50:51], v[54:55]
	v_mul_f64 v[52:53], v[165:166], s[16:17]
	v_mul_f64 v[54:55], v[124:125], s[16:17]
	s_delay_alu instid0(VALU_DEP_4) | instskip(NEXT) | instid1(VALU_DEP_4)
	v_add_f64 v[48:49], v[48:49], v[56:57]
	v_add_f64 v[50:51], v[50:51], v[58:59]
	s_delay_alu instid0(VALU_DEP_4)
	v_add_f64 v[52:53], v[146:147], v[52:53]
	v_mul_f64 v[58:59], v[124:125], s[10:11]
	v_add_f64 v[54:55], v[54:55], -v[140:141]
	v_mul_f64 v[56:57], v[165:166], s[10:11]
	v_add_f64 v[48:49], v[48:49], v[60:61]
	v_add_f64 v[50:51], v[50:51], v[62:63]
	v_mul_f64 v[62:63], v[124:125], s[6:7]
	v_add_f64 v[58:59], v[58:59], -v[132:133]
	v_mul_f64 v[60:61], v[165:166], s[6:7]
	v_add_f64 v[56:57], v[136:137], v[56:57]
	v_add_f64 v[48:49], v[48:49], v[64:65]
	;; [unrolled: 1-line block ×3, first 2 shown]
	scratch_load_b64 v[66:67], off, off offset:220 ; 8-byte Folded Reload
	v_mul_f64 v[64:65], v[165:166], s[4:5]
	v_add_f64 v[62:63], v[62:63], -v[114:115]
	v_add_f64 v[60:61], v[126:127], v[60:61]
	v_mul_f64 v[114:115], v[159:160], s[16:17]
	v_add_f64 v[48:49], v[48:49], v[68:69]
	v_add_f64 v[50:51], v[50:51], v[70:71]
	v_mul_f64 v[70:71], v[124:125], s[4:5]
	s_delay_alu instid0(VALU_DEP_3) | instskip(SKIP_3) | instid1(VALU_DEP_2)
	v_add_f64 v[48:49], v[48:49], v[72:73]
	scratch_load_b64 v[72:73], off, off offset:124 ; 8-byte Folded Reload
	v_add_f64 v[50:51], v[50:51], v[74:75]
	v_add_f64 v[48:49], v[48:49], v[80:81]
	;; [unrolled: 1-line block ×3, first 2 shown]
	s_delay_alu instid0(VALU_DEP_2) | instskip(NEXT) | instid1(VALU_DEP_2)
	v_add_f64 v[48:49], v[48:49], v[84:85]
	v_add_f64 v[50:51], v[50:51], v[86:87]
	s_delay_alu instid0(VALU_DEP_2) | instskip(NEXT) | instid1(VALU_DEP_2)
	v_add_f64 v[48:49], v[48:49], v[88:89]
	v_add_f64 v[50:51], v[50:51], v[90:91]
	;; [unrolled: 3-line block ×3, first 2 shown]
	v_mul_f64 v[94:95], v[203:204], s[56:57]
	s_delay_alu instid0(VALU_DEP_3) | instskip(NEXT) | instid1(VALU_DEP_3)
	v_add_f64 v[48:49], v[48:49], v[76:77]
	v_add_f64 v[50:51], v[50:51], v[78:79]
	s_delay_alu instid0(VALU_DEP_2) | instskip(SKIP_1) | instid1(VALU_DEP_3)
	v_add_f64 v[44:45], v[48:49], v[44:45]
	v_mul_f64 v[48:49], v[165:166], s[20:21]
	v_add_f64 v[46:47], v[50:51], v[46:47]
	v_mul_f64 v[50:51], v[124:125], s[20:21]
	s_waitcnt vmcnt(1)
	v_add_f64 v[64:65], v[66:67], v[64:65]
	v_mul_f64 v[66:67], v[128:129], s[42:43]
	v_add_f64 v[40:41], v[44:45], v[40:41]
	v_add_f64 v[48:49], v[154:155], v[48:49]
	;; [unrolled: 1-line block ×3, first 2 shown]
	v_mul_f64 v[46:47], v[124:125], s[22:23]
	v_mul_f64 v[44:45], v[165:166], s[22:23]
	v_add_f64 v[50:51], v[50:51], -v[150:151]
	v_add_f64 v[64:65], v[30:31], v[64:65]
	v_fma_f64 v[68:69], v[124:125], s[26:27], v[66:67]
	v_fma_f64 v[66:67], v[124:125], s[26:27], -v[66:67]
	v_add_f64 v[36:37], v[40:41], v[36:37]
	v_add_f64 v[80:81], v[30:31], v[48:49]
	;; [unrolled: 1-line block ×3, first 2 shown]
	v_mul_f64 v[42:43], v[124:125], s[24:25]
	v_add_f64 v[46:47], v[46:47], -v[161:162]
	v_add_f64 v[48:49], v[30:31], v[52:53]
	v_mul_f64 v[52:53], v[100:101], s[4:5]
	v_mul_f64 v[40:41], v[165:166], s[24:25]
	v_add_f64 v[44:45], v[167:168], v[44:45]
	v_add_f64 v[82:83], v[28:29], v[50:51]
	;; [unrolled: 1-line block ×3, first 2 shown]
	v_mul_f64 v[54:55], v[112:113], s[24:25]
	s_waitcnt vmcnt(0)
	v_add_f64 v[70:71], v[70:71], -v[72:73]
	v_add_f64 v[68:69], v[28:29], v[68:69]
	v_add_f64 v[66:67], v[28:29], v[66:67]
	;; [unrolled: 1-line block ×3, first 2 shown]
	v_mul_f64 v[36:37], v[165:166], s[26:27]
	v_add_f64 v[34:35], v[38:39], v[34:35]
	v_add_f64 v[42:43], v[42:43], -v[187:188]
	v_add_f64 v[78:79], v[28:29], v[46:47]
	v_add_f64 v[46:47], v[28:29], v[58:59]
	;; [unrolled: 1-line block ×5, first 2 shown]
	v_fma_f64 v[56:57], v[169:170], s[48:49], v[54:55]
	v_fma_f64 v[54:55], v[169:170], s[38:39], v[54:55]
	v_add_f64 v[70:71], v[28:29], v[70:71]
	v_fma_f64 v[38:39], v[171:172], s[52:53], v[36:37]
	v_fma_f64 v[36:37], v[171:172], s[42:43], v[36:37]
	v_add_f64 v[74:75], v[28:29], v[42:43]
	v_add_f64 v[42:43], v[28:29], v[62:63]
	v_fma_f64 v[28:29], v[157:158], s[8:9], v[52:53]
	v_fma_f64 v[52:53], v[157:158], s[46:47], v[52:53]
	v_add_f64 v[72:73], v[30:31], v[40:41]
	v_add_f64 v[40:41], v[30:31], v[60:61]
	;; [unrolled: 1-line block ×4, first 2 shown]
	s_delay_alu instid0(VALU_DEP_2) | instskip(SKIP_1) | instid1(VALU_DEP_3)
	v_add_f64 v[28:29], v[28:29], v[38:39]
	v_mul_f64 v[38:39], v[142:143], s[46:47]
	v_add_f64 v[36:37], v[52:53], v[36:37]
	s_delay_alu instid0(VALU_DEP_3) | instskip(NEXT) | instid1(VALU_DEP_3)
	v_add_f64 v[28:29], v[56:57], v[28:29]
	v_fma_f64 v[30:31], v[96:97], s[4:5], v[38:39]
	v_mul_f64 v[56:57], v[163:164], s[38:39]
	v_fma_f64 v[38:39], v[96:97], s[4:5], -v[38:39]
	v_add_f64 v[36:37], v[54:55], v[36:37]
	v_fma_f64 v[54:55], v[148:149], s[16:17], -v[94:95]
	v_add_f64 v[30:31], v[30:31], v[68:69]
	v_fma_f64 v[58:59], v[104:105], s[24:25], v[56:57]
	v_add_f64 v[38:39], v[38:39], v[66:67]
	v_fma_f64 v[52:53], v[104:105], s[24:25], -v[56:57]
	s_clause 0x1
	scratch_load_b64 v[56:57], off, off offset:332
	scratch_load_b64 v[66:67], off, off offset:316
	v_add_f64 v[30:31], v[58:59], v[30:31]
	v_mul_f64 v[58:59], v[120:121], s[6:7]
	v_add_f64 v[38:39], v[52:53], v[38:39]
	s_delay_alu instid0(VALU_DEP_2) | instskip(SKIP_1) | instid1(VALU_DEP_2)
	v_fma_f64 v[60:61], v[175:176], s[18:19], v[58:59]
	v_fma_f64 v[58:59], v[175:176], s[50:51], v[58:59]
	v_add_f64 v[28:29], v[60:61], v[28:29]
	v_mul_f64 v[60:61], v[173:174], s[50:51]
	s_delay_alu instid0(VALU_DEP_3)
	v_add_f64 v[36:37], v[58:59], v[36:37]
	scratch_load_b64 v[58:59], off, off offset:292 ; 8-byte Folded Reload
	v_fma_f64 v[62:63], v[108:109], s[6:7], v[60:61]
	v_fma_f64 v[52:53], v[108:109], s[6:7], -v[60:61]
	scratch_load_b64 v[60:61], off, off offset:268 ; 8-byte Folded Reload
	v_add_f64 v[30:31], v[62:63], v[30:31]
	v_mul_f64 v[62:63], v[134:135], s[22:23]
	v_add_f64 v[38:39], v[52:53], v[38:39]
	s_delay_alu instid0(VALU_DEP_2) | instskip(SKIP_1) | instid1(VALU_DEP_2)
	v_fma_f64 v[68:69], v[179:180], s[54:55], v[62:63]
	v_fma_f64 v[62:63], v[179:180], s[36:37], v[62:63]
	v_add_f64 v[28:29], v[68:69], v[28:29]
	v_mul_f64 v[68:69], v[177:178], s[36:37]
	s_delay_alu instid0(VALU_DEP_3)
	v_add_f64 v[36:37], v[62:63], v[36:37]
	scratch_load_b64 v[62:63], off, off offset:252 ; 8-byte Folded Reload
	v_fma_f64 v[84:85], v[116:117], s[22:23], v[68:69]
	v_fma_f64 v[52:53], v[116:117], s[22:23], -v[68:69]
	scratch_load_b64 v[68:69], off, off offset:276 ; 8-byte Folded Reload
	;; [unrolled: 14-line block ×3, first 2 shown]
	v_add_f64 v[30:31], v[88:89], v[30:31]
	v_mul_f64 v[88:89], v[152:153], s[20:21]
	v_add_f64 v[38:39], v[52:53], v[38:39]
	s_delay_alu instid0(VALU_DEP_2) | instskip(SKIP_1) | instid1(VALU_DEP_2)
	v_fma_f64 v[90:91], v[191:192], s[44:45], v[88:89]
	v_fma_f64 v[88:89], v[191:192], s[34:35], v[88:89]
	v_add_f64 v[28:29], v[90:91], v[28:29]
	v_mul_f64 v[90:91], v[185:186], s[34:35]
	s_delay_alu instid0(VALU_DEP_3) | instskip(NEXT) | instid1(VALU_DEP_2)
	v_add_f64 v[36:37], v[88:89], v[36:37]
	v_fma_f64 v[92:93], v[138:139], s[20:21], v[90:91]
	v_fma_f64 v[52:53], v[138:139], s[20:21], -v[90:91]
	s_delay_alu instid0(VALU_DEP_2) | instskip(SKIP_1) | instid1(VALU_DEP_3)
	v_add_f64 v[92:93], v[92:93], v[30:31]
	v_fma_f64 v[30:31], v[209:210], s[30:31], v[114:115]
	v_add_f64 v[52:53], v[52:53], v[38:39]
	s_delay_alu instid0(VALU_DEP_2) | instskip(SKIP_1) | instid1(VALU_DEP_1)
	v_add_f64 v[30:31], v[30:31], v[28:29]
	v_fma_f64 v[28:29], v[148:149], s[16:17], v[94:95]
	v_add_f64 v[28:29], v[28:29], v[92:93]
	v_fma_f64 v[92:93], v[209:210], s[56:57], v[114:115]
	s_delay_alu instid0(VALU_DEP_1) | instskip(SKIP_4) | instid1(VALU_DEP_1)
	v_add_f64 v[38:39], v[92:93], v[36:37]
	v_add_f64 v[36:37], v[54:55], v[52:53]
	scratch_load_b64 v[54:55], off, off offset:380 ; 8-byte Folded Reload
	v_mul_f64 v[52:53], v[144:145], s[20:21]
	s_waitcnt vmcnt(0)
	v_add_f64 v[52:53], v[54:55], v[52:53]
	v_mul_f64 v[54:55], v[134:135], s[24:25]
	s_delay_alu instid0(VALU_DEP_1) | instskip(SKIP_1) | instid1(VALU_DEP_1)
	v_add_f64 v[54:55], v[56:57], v[54:55]
	v_mul_f64 v[56:57], v[120:121], s[26:27]
	v_add_f64 v[56:57], v[58:59], v[56:57]
	v_mul_f64 v[58:59], v[112:113], s[22:23]
	s_delay_alu instid0(VALU_DEP_1) | instskip(SKIP_1) | instid1(VALU_DEP_1)
	v_add_f64 v[58:59], v[60:61], v[58:59]
	v_mul_f64 v[60:61], v[100:101], s[16:17]
	v_add_f64 v[60:61], v[62:63], v[60:61]
	v_mul_f64 v[62:63], v[130:131], s[20:21]
	s_delay_alu instid0(VALU_DEP_2) | instskip(NEXT) | instid1(VALU_DEP_2)
	v_add_f64 v[40:41], v[60:61], v[40:41]
	v_add_f64 v[62:63], v[62:63], -v[66:67]
	v_mul_f64 v[66:67], v[116:117], s[24:25]
	v_mul_f64 v[60:61], v[108:109], s[26:27]
	s_delay_alu instid0(VALU_DEP_4) | instskip(SKIP_1) | instid1(VALU_DEP_4)
	v_add_f64 v[40:41], v[58:59], v[40:41]
	v_mul_f64 v[58:59], v[152:153], s[10:11]
	v_add_f64 v[66:67], v[66:67], -v[68:69]
	v_mul_f64 v[68:69], v[96:97], s[16:17]
	s_delay_alu instid0(VALU_DEP_4) | instskip(SKIP_1) | instid1(VALU_DEP_3)
	v_add_f64 v[40:41], v[56:57], v[40:41]
	v_mul_f64 v[56:57], v[138:139], s[10:11]
	v_add_f64 v[68:69], v[68:69], -v[84:85]
	v_mul_f64 v[84:85], v[104:105], s[22:23]
	s_delay_alu instid0(VALU_DEP_4) | instskip(SKIP_1) | instid1(VALU_DEP_4)
	v_add_f64 v[40:41], v[54:55], v[40:41]
	v_mul_f64 v[54:55], v[159:160], s[4:5]
	v_add_f64 v[42:43], v[68:69], v[42:43]
	scratch_load_b64 v[68:69], off, off offset:244 ; 8-byte Folded Reload
	v_add_f64 v[84:85], v[84:85], -v[86:87]
	v_add_f64 v[40:41], v[52:53], v[40:41]
	v_mul_f64 v[52:53], v[148:149], s[4:5]
	s_delay_alu instid0(VALU_DEP_3)
	v_add_f64 v[42:43], v[84:85], v[42:43]
	scratch_load_b64 v[84:85], off, off offset:300 ; 8-byte Folded Reload
	s_waitcnt vmcnt(1)
	v_add_f64 v[60:61], v[60:61], -v[68:69]
	scratch_load_b64 v[68:69], off, off offset:340 ; 8-byte Folded Reload
	v_add_f64 v[42:43], v[60:61], v[42:43]
	scratch_load_b64 v[60:61], off, off offset:284 ; 8-byte Folded Reload
	v_add_f64 v[42:43], v[66:67], v[42:43]
	s_clause 0x1
	scratch_load_b64 v[66:67], off, off offset:540
	scratch_load_b64 v[86:87], off, off offset:324
	v_add_f64 v[42:43], v[62:63], v[42:43]
	scratch_load_b64 v[62:63], off, off offset:356 ; 8-byte Folded Reload
	s_waitcnt vmcnt(3)
	v_add_f64 v[56:57], v[56:57], -v[60:61]
	scratch_load_b64 v[60:61], off, off offset:372 ; 8-byte Folded Reload
	v_add_f64 v[56:57], v[56:57], v[42:43]
	s_waitcnt vmcnt(0)
	v_add_f64 v[54:55], v[60:61], v[54:55]
	scratch_load_b64 v[60:61], off, off offset:308 ; 8-byte Folded Reload
	v_add_f64 v[58:59], v[68:69], v[58:59]
	scratch_load_b64 v[68:69], off, off offset:444 ; 8-byte Folded Reload
	;; [unrolled: 2-line block ×3, first 2 shown]
	v_add_f64 v[42:43], v[54:55], v[40:41]
	v_mul_f64 v[54:55], v[134:135], s[6:7]
	s_waitcnt vmcnt(2)
	v_add_f64 v[52:53], v[52:53], -v[60:61]
	scratch_load_b64 v[60:61], off, off offset:388 ; 8-byte Folded Reload
	v_add_f64 v[40:41], v[52:53], v[56:57]
	scratch_load_b64 v[56:57], off, off offset:572 ; 8-byte Folded Reload
	v_mul_f64 v[52:53], v[144:145], s[4:5]
	s_delay_alu instid0(VALU_DEP_1) | instskip(SKIP_3) | instid1(VALU_DEP_1)
	v_add_f64 v[52:53], v[217:218], v[52:53]
	s_waitcnt vmcnt(0)
	v_add_f64 v[54:55], v[56:57], v[54:55]
	v_mul_f64 v[56:57], v[120:121], s[20:21]
	v_add_f64 v[56:57], v[58:59], v[56:57]
	v_mul_f64 v[58:59], v[112:113], s[26:27]
	s_delay_alu instid0(VALU_DEP_1) | instskip(SKIP_1) | instid1(VALU_DEP_1)
	v_add_f64 v[58:59], v[60:61], v[58:59]
	v_mul_f64 v[60:61], v[100:101], s[22:23]
	v_add_f64 v[60:61], v[62:63], v[60:61]
	v_mul_f64 v[62:63], v[130:131], s[4:5]
	s_delay_alu instid0(VALU_DEP_2) | instskip(NEXT) | instid1(VALU_DEP_2)
	v_add_f64 v[44:45], v[60:61], v[44:45]
	v_add_f64 v[62:63], v[62:63], -v[66:67]
	v_mul_f64 v[66:67], v[116:117], s[6:7]
	v_mul_f64 v[60:61], v[108:109], s[20:21]
	s_delay_alu instid0(VALU_DEP_4) | instskip(SKIP_1) | instid1(VALU_DEP_4)
	v_add_f64 v[44:45], v[58:59], v[44:45]
	v_mul_f64 v[58:59], v[152:153], s[16:17]
	v_add_f64 v[66:67], v[66:67], -v[68:69]
	v_mul_f64 v[68:69], v[96:97], s[22:23]
	s_delay_alu instid0(VALU_DEP_4) | instskip(SKIP_1) | instid1(VALU_DEP_3)
	v_add_f64 v[44:45], v[56:57], v[44:45]
	v_mul_f64 v[56:57], v[138:139], s[16:17]
	v_add_f64 v[68:69], v[68:69], -v[84:85]
	v_mul_f64 v[84:85], v[104:105], s[26:27]
	s_delay_alu instid0(VALU_DEP_4) | instskip(SKIP_1) | instid1(VALU_DEP_4)
	v_add_f64 v[44:45], v[54:55], v[44:45]
	v_mul_f64 v[54:55], v[159:160], s[24:25]
	v_add_f64 v[46:47], v[68:69], v[46:47]
	scratch_load_b64 v[68:69], off, off offset:348 ; 8-byte Folded Reload
	v_add_f64 v[84:85], v[84:85], -v[86:87]
	scratch_load_b64 v[86:87], off, off offset:396 ; 8-byte Folded Reload
	v_add_f64 v[44:45], v[52:53], v[44:45]
	v_mul_f64 v[52:53], v[148:149], s[24:25]
	v_add_f64 v[46:47], v[84:85], v[46:47]
	scratch_load_b64 v[84:85], off, off offset:364 ; 8-byte Folded Reload
	s_waitcnt vmcnt(2)
	v_add_f64 v[60:61], v[60:61], -v[68:69]
	scratch_load_b64 v[68:69], off, off offset:492 ; 8-byte Folded Reload
	v_add_f64 v[46:47], v[60:61], v[46:47]
	scratch_load_b64 v[60:61], off, off offset:436 ; 8-byte Folded Reload
	v_add_f64 v[46:47], v[66:67], v[46:47]
	v_mul_f64 v[66:67], v[116:117], s[10:11]
	s_delay_alu instid0(VALU_DEP_2)
	v_add_f64 v[46:47], v[62:63], v[46:47]
	scratch_load_b64 v[62:63], off, off offset:428 ; 8-byte Folded Reload
	s_waitcnt vmcnt(2)
	v_add_f64 v[58:59], v[68:69], v[58:59]
	scratch_load_b64 v[68:69], off, off offset:532 ; 8-byte Folded Reload
	v_add_f64 v[44:45], v[58:59], v[44:45]
	scratch_load_b64 v[58:59], off, off offset:588 ; 8-byte Folded Reload
	s_waitcnt vmcnt(1)
	v_add_f64 v[66:67], v[66:67], -v[68:69]
	v_mul_f64 v[68:69], v[96:97], s[26:27]
	s_delay_alu instid0(VALU_DEP_1) | instskip(SKIP_1) | instid1(VALU_DEP_2)
	v_add_f64 v[68:69], v[68:69], -v[84:85]
	v_mul_f64 v[84:85], v[104:105], s[20:21]
	v_add_f64 v[50:51], v[68:69], v[50:51]
	s_delay_alu instid0(VALU_DEP_2)
	v_add_f64 v[84:85], v[84:85], -v[86:87]
	scratch_load_b64 v[86:87], off, off offset:460 ; 8-byte Folded Reload
	v_add_f64 v[56:57], v[56:57], -v[60:61]
	s_clause 0x1
	scratch_load_b64 v[60:61], off, off offset:484
	scratch_load_b64 v[68:69], off, off offset:412
	v_add_f64 v[50:51], v[84:85], v[50:51]
	scratch_load_b64 v[84:85], off, off offset:404 ; 8-byte Folded Reload
	v_add_f64 v[56:57], v[56:57], v[46:47]
	s_waitcnt vmcnt(2)
	v_add_f64 v[54:55], v[60:61], v[54:55]
	scratch_load_b64 v[60:61], off, off offset:420 ; 8-byte Folded Reload
	v_add_f64 v[46:47], v[54:55], v[44:45]
	v_mul_f64 v[54:55], v[134:135], s[10:11]
	s_delay_alu instid0(VALU_DEP_1)
	v_add_f64 v[54:55], v[207:208], v[54:55]
	s_waitcnt vmcnt(0)
	v_add_f64 v[52:53], v[52:53], -v[60:61]
	scratch_load_b64 v[60:61], off, off offset:508 ; 8-byte Folded Reload
	v_add_f64 v[44:45], v[52:53], v[56:57]
	v_mul_f64 v[56:57], v[120:121], s[4:5]
	v_mul_f64 v[52:53], v[144:145], s[24:25]
	s_delay_alu instid0(VALU_DEP_2) | instskip(SKIP_1) | instid1(VALU_DEP_3)
	v_add_f64 v[56:57], v[58:59], v[56:57]
	v_mul_f64 v[58:59], v[112:113], s[20:21]
	v_add_f64 v[52:53], v[233:234], v[52:53]
	s_waitcnt vmcnt(0)
	s_delay_alu instid0(VALU_DEP_2) | instskip(SKIP_1) | instid1(VALU_DEP_1)
	v_add_f64 v[58:59], v[60:61], v[58:59]
	v_mul_f64 v[60:61], v[100:101], s[26:27]
	v_add_f64 v[60:61], v[62:63], v[60:61]
	v_mul_f64 v[62:63], v[130:131], s[24:25]
	s_delay_alu instid0(VALU_DEP_2) | instskip(SKIP_1) | instid1(VALU_DEP_3)
	v_add_f64 v[48:49], v[60:61], v[48:49]
	v_mul_f64 v[60:61], v[108:109], s[4:5]
	v_add_f64 v[62:63], v[62:63], -v[195:196]
	s_delay_alu instid0(VALU_DEP_3) | instskip(NEXT) | instid1(VALU_DEP_3)
	v_add_f64 v[48:49], v[58:59], v[48:49]
	v_add_f64 v[60:61], v[60:61], -v[68:69]
	scratch_load_b64 v[68:69], off, off offset:596 ; 8-byte Folded Reload
	v_mul_f64 v[58:59], v[152:153], s[22:23]
	v_add_f64 v[48:49], v[56:57], v[48:49]
	v_add_f64 v[50:51], v[60:61], v[50:51]
	scratch_load_b64 v[60:61], off, off offset:524 ; 8-byte Folded Reload
	v_mul_f64 v[56:57], v[138:139], s[22:23]
	v_add_f64 v[48:49], v[54:55], v[48:49]
	v_mul_f64 v[54:55], v[159:160], s[6:7]
	v_add_f64 v[50:51], v[66:67], v[50:51]
	v_mul_f64 v[66:67], v[116:117], s[26:27]
	s_delay_alu instid0(VALU_DEP_4) | instskip(SKIP_1) | instid1(VALU_DEP_4)
	v_add_f64 v[48:49], v[52:53], v[48:49]
	v_mul_f64 v[52:53], v[148:149], s[6:7]
	v_add_f64 v[50:51], v[62:63], v[50:51]
	s_delay_alu instid0(VALU_DEP_4) | instskip(SKIP_4) | instid1(VALU_DEP_2)
	v_add_f64 v[66:67], v[66:67], -v[199:200]
	scratch_load_b64 v[62:63], off, off offset:516 ; 8-byte Folded Reload
	s_waitcnt vmcnt(2)
	v_add_f64 v[58:59], v[68:69], v[58:59]
	v_mul_f64 v[68:69], v[96:97], s[24:25]
	v_add_f64 v[48:49], v[58:59], v[48:49]
	s_delay_alu instid0(VALU_DEP_2) | instskip(SKIP_2) | instid1(VALU_DEP_3)
	v_add_f64 v[68:69], v[68:69], -v[84:85]
	v_mul_f64 v[84:85], v[104:105], s[6:7]
	v_mul_f64 v[58:59], v[112:113], s[6:7]
	v_add_f64 v[68:69], v[68:69], v[82:83]
	s_delay_alu instid0(VALU_DEP_3)
	v_add_f64 v[84:85], v[84:85], -v[86:87]
	scratch_load_b64 v[86:87], off, off offset:556 ; 8-byte Folded Reload
	s_waitcnt vmcnt(2)
	v_add_f64 v[56:57], v[56:57], -v[60:61]
	s_clause 0x1
	scratch_load_b64 v[60:61], off, off offset:580
	scratch_load_b64 v[82:83], off, off offset:476
	v_add_f64 v[56:57], v[56:57], v[50:51]
	s_waitcnt vmcnt(1)
	v_add_f64 v[54:55], v[60:61], v[54:55]
	scratch_load_b64 v[60:61], off, off offset:500 ; 8-byte Folded Reload
	v_add_f64 v[50:51], v[54:55], v[48:49]
	v_mul_f64 v[54:55], v[134:135], s[26:27]
	s_delay_alu instid0(VALU_DEP_1)
	v_add_f64 v[54:55], v[241:242], v[54:55]
	s_waitcnt vmcnt(0)
	v_add_f64 v[52:53], v[52:53], -v[60:61]
	scratch_load_b64 v[60:61], off, off offset:612 ; 8-byte Folded Reload
	v_add_f64 v[48:49], v[52:53], v[56:57]
	v_mul_f64 v[56:57], v[120:121], s[10:11]
	v_mul_f64 v[52:53], v[144:145], s[16:17]
	s_delay_alu instid0(VALU_DEP_2) | instskip(NEXT) | instid1(VALU_DEP_2)
	v_add_f64 v[56:57], v[215:216], v[56:57]
	v_add_f64 v[52:53], v[102:103], v[52:53]
	s_waitcnt vmcnt(0)
	v_add_f64 v[58:59], v[60:61], v[58:59]
	v_mul_f64 v[60:61], v[100:101], s[24:25]
	s_delay_alu instid0(VALU_DEP_1) | instskip(SKIP_1) | instid1(VALU_DEP_2)
	v_add_f64 v[60:61], v[62:63], v[60:61]
	v_mul_f64 v[62:63], v[130:131], s[16:17]
	v_add_f64 v[60:61], v[60:61], v[80:81]
	v_mul_f64 v[80:81], v[108:109], s[10:11]
	s_delay_alu instid0(VALU_DEP_3) | instskip(NEXT) | instid1(VALU_DEP_3)
	v_add_f64 v[62:63], v[62:63], -v[227:228]
	v_add_f64 v[58:59], v[58:59], v[60:61]
	v_add_f64 v[60:61], v[84:85], v[68:69]
	scratch_load_b64 v[84:85], off, off offset:468 ; 8-byte Folded Reload
	v_add_f64 v[80:81], v[80:81], -v[82:83]
	v_mul_f64 v[68:69], v[152:153], s[4:5]
	v_mul_f64 v[82:83], v[96:97], s[20:21]
	v_add_f64 v[56:57], v[56:57], v[58:59]
	s_delay_alu instid0(VALU_DEP_4) | instskip(NEXT) | instid1(VALU_DEP_4)
	v_add_f64 v[58:59], v[80:81], v[60:61]
	v_add_f64 v[68:69], v[219:220], v[68:69]
	scratch_load_b64 v[80:81], off, off offset:628 ; 8-byte Folded Reload
	v_mul_f64 v[60:61], v[138:139], s[4:5]
	v_add_f64 v[54:55], v[54:55], v[56:57]
	v_add_f64 v[56:57], v[66:67], v[58:59]
	v_mul_f64 v[66:67], v[100:101], s[20:21]
	v_mul_f64 v[58:59], v[159:160], s[22:23]
	s_delay_alu instid0(VALU_DEP_4) | instskip(NEXT) | instid1(VALU_DEP_4)
	v_add_f64 v[52:53], v[52:53], v[54:55]
	v_add_f64 v[54:55], v[62:63], v[56:57]
	scratch_load_b64 v[62:63], off, off offset:604 ; 8-byte Folded Reload
	v_mul_f64 v[56:57], v[148:149], s[22:23]
	v_add_f64 v[58:59], v[211:212], v[58:59]
	v_add_f64 v[52:53], v[68:69], v[52:53]
	scratch_load_b64 v[68:69], off, off offset:620 ; 8-byte Folded Reload
	s_waitcnt vmcnt(3)
	v_add_f64 v[82:83], v[82:83], -v[84:85]
	v_mul_f64 v[84:85], v[104:105], s[4:5]
	s_delay_alu instid0(VALU_DEP_1) | instskip(SKIP_4) | instid1(VALU_DEP_2)
	v_add_f64 v[84:85], v[84:85], -v[86:87]
	scratch_load_b64 v[86:87], off, off offset:56 ; 8-byte Folded Reload
	s_waitcnt vmcnt(3)
	v_add_f64 v[60:61], v[60:61], -v[80:81]
	v_mul_f64 v[80:81], v[116:117], s[16:17]
	v_add_f64 v[60:61], v[60:61], v[54:55]
	v_add_f64 v[54:55], v[58:59], v[52:53]
	v_mul_f64 v[58:59], v[134:135], s[16:17]
	s_delay_alu instid0(VALU_DEP_4) | instskip(NEXT) | instid1(VALU_DEP_2)
	v_add_f64 v[80:81], v[80:81], -v[225:226]
	v_add_f64 v[58:59], v[253:254], v[58:59]
	s_waitcnt vmcnt(1)
	v_add_f64 v[66:67], v[68:69], v[66:67]
	v_mul_f64 v[68:69], v[130:131], s[6:7]
	s_delay_alu instid0(VALU_DEP_2)
	v_add_f64 v[66:67], v[66:67], v[76:77]
	v_add_f64 v[76:77], v[82:83], v[78:79]
	scratch_load_b64 v[82:83], off, off offset:564 ; 8-byte Folded Reload
	v_add_f64 v[56:57], v[56:57], -v[62:63]
	v_mul_f64 v[62:63], v[112:113], s[4:5]
	v_mul_f64 v[78:79], v[108:109], s[24:25]
	v_add_f64 v[68:69], v[68:69], -v[247:248]
	s_delay_alu instid0(VALU_DEP_4) | instskip(NEXT) | instid1(VALU_DEP_4)
	v_add_f64 v[52:53], v[56:57], v[60:61]
	v_add_f64 v[62:63], v[223:224], v[62:63]
	v_mul_f64 v[60:61], v[120:121], s[24:25]
	v_mul_f64 v[56:57], v[144:145], s[6:7]
	s_delay_alu instid0(VALU_DEP_3)
	v_add_f64 v[62:63], v[62:63], v[66:67]
	v_add_f64 v[66:67], v[84:85], v[76:77]
	scratch_load_b64 v[84:85], off, off offset:548 ; 8-byte Folded Reload
	v_add_f64 v[60:61], v[243:244], v[60:61]
	v_add_f64 v[56:57], v[118:119], v[56:57]
	v_mul_f64 v[76:77], v[152:153], s[26:27]
	s_delay_alu instid0(VALU_DEP_3) | instskip(NEXT) | instid1(VALU_DEP_2)
	v_add_f64 v[60:61], v[60:61], v[62:63]
	v_add_f64 v[76:77], v[235:236], v[76:77]
	s_delay_alu instid0(VALU_DEP_2) | instskip(NEXT) | instid1(VALU_DEP_1)
	v_add_f64 v[58:59], v[58:59], v[60:61]
	v_add_f64 v[56:57], v[56:57], v[58:59]
	s_delay_alu instid0(VALU_DEP_1) | instskip(SKIP_1) | instid1(VALU_DEP_1)
	v_add_f64 v[56:57], v[76:77], v[56:57]
	v_mul_f64 v[76:77], v[100:101], s[10:11]
	v_add_f64 v[76:77], v[213:214], v[76:77]
	s_delay_alu instid0(VALU_DEP_1) | instskip(SKIP_4) | instid1(VALU_DEP_3)
	v_add_f64 v[72:73], v[76:77], v[72:73]
	v_mul_f64 v[76:77], v[108:109], s[22:23]
	s_waitcnt vmcnt(1)
	v_add_f64 v[78:79], v[78:79], -v[82:83]
	v_mul_f64 v[82:83], v[96:97], s[10:11]
	v_add_f64 v[76:77], v[76:77], -v[201:202]
	s_delay_alu instid0(VALU_DEP_3) | instskip(SKIP_2) | instid1(VALU_DEP_3)
	v_add_f64 v[62:63], v[78:79], v[66:67]
	v_mul_f64 v[66:67], v[138:139], s[26:27]
	v_mul_f64 v[78:79], v[130:131], s[26:27]
	v_add_f64 v[60:61], v[80:81], v[62:63]
	s_delay_alu instid0(VALU_DEP_3)
	v_add_f64 v[66:67], v[66:67], -v[221:222]
	v_mul_f64 v[62:63], v[159:160], s[10:11]
	v_mul_f64 v[80:81], v[116:117], s[4:5]
	s_waitcnt vmcnt(0)
	v_add_f64 v[82:83], v[82:83], -v[84:85]
	v_mul_f64 v[84:85], v[104:105], s[16:17]
	v_add_f64 v[78:79], v[78:79], -v[106:107]
	v_add_f64 v[58:59], v[68:69], v[60:61]
	v_mul_f64 v[60:61], v[148:149], s[10:11]
	v_add_f64 v[62:63], v[231:232], v[62:63]
	v_mul_f64 v[68:69], v[112:113], s[16:17]
	v_add_f64 v[74:75], v[82:83], v[74:75]
	v_add_f64 v[84:85], v[84:85], -v[197:198]
	v_add_f64 v[80:81], v[80:81], -v[245:246]
	v_add_f64 v[66:67], v[66:67], v[58:59]
	v_add_f64 v[60:61], v[60:61], -v[205:206]
	v_add_f64 v[58:59], v[62:63], v[56:57]
	v_add_f64 v[68:69], v[239:240], v[68:69]
	v_mul_f64 v[62:63], v[134:135], s[4:5]
	s_delay_alu instid0(VALU_DEP_4) | instskip(SKIP_1) | instid1(VALU_DEP_4)
	v_add_f64 v[56:57], v[60:61], v[66:67]
	v_mul_f64 v[66:67], v[120:121], s[22:23]
	v_add_f64 v[68:69], v[68:69], v[72:73]
	v_mul_f64 v[60:61], v[144:145], s[26:27]
	v_add_f64 v[62:63], v[110:111], v[62:63]
	v_add_f64 v[72:73], v[84:85], v[74:75]
	v_mul_f64 v[74:75], v[152:153], s[6:7]
	s_clause 0x1
	scratch_load_b64 v[84:85], off, off offset:40
	scratch_load_b64 v[82:83], off, off offset:8
	v_add_f64 v[66:67], v[251:252], v[66:67]
	v_add_f64 v[60:61], v[122:123], v[60:61]
	;; [unrolled: 1-line block ×3, first 2 shown]
	s_delay_alu instid0(VALU_DEP_3) | instskip(SKIP_2) | instid1(VALU_DEP_3)
	v_add_f64 v[66:67], v[66:67], v[68:69]
	v_add_f64 v[68:69], v[76:77], v[72:73]
	v_mul_f64 v[72:73], v[138:139], s[6:7]
	v_add_f64 v[62:63], v[62:63], v[66:67]
	s_delay_alu instid0(VALU_DEP_3) | instskip(SKIP_1) | instid1(VALU_DEP_4)
	v_add_f64 v[66:67], v[80:81], v[68:69]
	v_mul_f64 v[68:69], v[159:160], s[20:21]
	v_add_f64 v[72:73], v[72:73], -v[237:238]
	s_clause 0x1
	scratch_load_b64 v[80:81], off, off offset:140
	scratch_load_b64 v[76:77], off, off offset:72
	v_add_f64 v[60:61], v[60:61], v[62:63]
	v_add_f64 v[62:63], v[78:79], v[66:67]
	;; [unrolled: 1-line block ×3, first 2 shown]
	v_mul_f64 v[66:67], v[148:149], s[20:21]
	scratch_load_b64 v[78:79], off, off offset:24 ; 8-byte Folded Reload
	v_add_f64 v[60:61], v[74:75], v[60:61]
	v_add_f64 v[72:73], v[72:73], v[62:63]
	scratch_load_b64 v[74:75], off, off offset:104 ; 8-byte Folded Reload
	v_add_f64 v[66:67], v[66:67], -v[229:230]
	v_add_f64 v[62:63], v[68:69], v[60:61]
	scratch_load_b64 v[68:69], off, off offset:180 ; 8-byte Folded Reload
	v_add_f64 v[60:61], v[66:67], v[72:73]
	scratch_load_b64 v[72:73], off, off offset:156 ; 8-byte Folded Reload
	v_mul_f64 v[66:67], v[144:145], s[22:23]
	s_waitcnt vmcnt(1)
	s_delay_alu instid0(VALU_DEP_1) | instskip(SKIP_2) | instid1(VALU_DEP_1)
	v_add_f64 v[66:67], v[68:69], v[66:67]
	v_mul_f64 v[68:69], v[134:135], s[20:21]
	s_waitcnt vmcnt(0)
	v_add_f64 v[68:69], v[72:73], v[68:69]
	v_mul_f64 v[72:73], v[120:121], s[16:17]
	s_delay_alu instid0(VALU_DEP_1) | instskip(SKIP_1) | instid1(VALU_DEP_1)
	v_add_f64 v[72:73], v[74:75], v[72:73]
	v_mul_f64 v[74:75], v[112:113], s[10:11]
	v_add_f64 v[74:75], v[76:77], v[74:75]
	v_mul_f64 v[76:77], v[100:101], s[6:7]
	s_delay_alu instid0(VALU_DEP_1) | instskip(SKIP_1) | instid1(VALU_DEP_2)
	v_add_f64 v[76:77], v[78:79], v[76:77]
	v_mul_f64 v[78:79], v[130:131], s[22:23]
	v_add_f64 v[64:65], v[76:77], v[64:65]
	s_delay_alu instid0(VALU_DEP_2) | instskip(SKIP_2) | instid1(VALU_DEP_4)
	v_add_f64 v[78:79], v[78:79], -v[80:81]
	v_mul_f64 v[80:81], v[96:97], s[6:7]
	v_mul_f64 v[76:77], v[116:117], s[20:21]
	v_add_f64 v[64:65], v[74:75], v[64:65]
	v_mul_f64 v[74:75], v[152:153], s[24:25]
	s_delay_alu instid0(VALU_DEP_4) | instskip(SKIP_1) | instid1(VALU_DEP_4)
	v_add_f64 v[80:81], v[80:81], -v[82:83]
	v_mul_f64 v[82:83], v[104:105], s[10:11]
	v_add_f64 v[64:65], v[72:73], v[64:65]
	v_mul_f64 v[72:73], v[138:139], s[24:25]
	s_delay_alu instid0(VALU_DEP_4) | instskip(SKIP_4) | instid1(VALU_DEP_3)
	v_add_f64 v[70:71], v[80:81], v[70:71]
	scratch_load_b64 v[80:81], off, off offset:88 ; 8-byte Folded Reload
	v_add_f64 v[82:83], v[82:83], -v[84:85]
	v_mul_f64 v[84:85], v[108:109], s[16:17]
	v_add_f64 v[64:65], v[68:69], v[64:65]
	v_add_f64 v[70:71], v[82:83], v[70:71]
	s_delay_alu instid0(VALU_DEP_3) | instskip(NEXT) | instid1(VALU_DEP_3)
	v_add_f64 v[84:85], v[84:85], -v[86:87]
	v_add_f64 v[64:65], v[66:67], v[64:65]
	s_delay_alu instid0(VALU_DEP_2)
	v_add_f64 v[70:71], v[84:85], v[70:71]
	s_waitcnt vmcnt(0)
	v_add_f64 v[76:77], v[76:77], -v[80:81]
	scratch_load_b64 v[80:81], off, off offset:196 ; 8-byte Folded Reload
	v_add_f64 v[68:69], v[76:77], v[70:71]
	scratch_load_b64 v[76:77], off, off offset:204 ; 8-byte Folded Reload
	v_mul_f64 v[70:71], v[159:160], s[26:27]
	v_add_f64 v[66:67], v[78:79], v[68:69]
	v_mul_f64 v[68:69], v[148:149], s[26:27]
	s_waitcnt vmcnt(1)
	v_add_f64 v[74:75], v[80:81], v[74:75]
	scratch_load_b64 v[80:81], off, off offset:172 ; 8-byte Folded Reload
	s_waitcnt vmcnt(1)
	v_add_f64 v[70:71], v[76:77], v[70:71]
	scratch_load_b64 v[76:77], off, off offset:188 ; 8-byte Folded Reload
	v_add_f64 v[64:65], v[74:75], v[64:65]
	s_waitcnt vmcnt(1)
	v_add_f64 v[72:73], v[72:73], -v[80:81]
	s_waitcnt vmcnt(0)
	v_add_f64 v[68:69], v[68:69], -v[76:77]
	s_delay_alu instid0(VALU_DEP_2) | instskip(NEXT) | instid1(VALU_DEP_4)
	v_add_f64 v[72:73], v[72:73], v[66:67]
	v_add_f64 v[66:67], v[70:71], v[64:65]
	s_delay_alu instid0(VALU_DEP_2) | instskip(SKIP_1) | instid1(VALU_DEP_1)
	v_add_f64 v[64:65], v[68:69], v[72:73]
	v_mul_lo_u16 v68, v156, 17
	v_and_b32_e32 v68, 0xffff, v68
	s_delay_alu instid0(VALU_DEP_1)
	v_lshlrev_b32_e32 v68, 4, v68
	ds_store_b128 v68, v[40:43] offset:32
	ds_store_b128 v68, v[24:27] offset:160
	ds_store_b128 v68, v[20:23] offset:176
	ds_store_b128 v68, v[16:19] offset:192
	ds_store_b128 v68, v[12:15] offset:208
	ds_store_b128 v68, v[8:11] offset:224
	ds_store_b128 v68, v[4:7] offset:240
	ds_store_b128 v68, v[44:47] offset:48
	ds_store_b128 v68, v[48:51] offset:64
	ds_store_b128 v68, v[52:55] offset:80
	ds_store_b128 v68, v[56:59] offset:96
	ds_store_b128 v68, v[60:63] offset:112
	ds_store_b128 v68, v[36:39] offset:128
	ds_store_b128 v68, v[28:31] offset:144
	ds_store_b128 v68, v[64:67] offset:16
	ds_store_b128 v68, v[32:35]
	ds_store_b128 v68, v[0:3] offset:256
.LBB0_7:
	s_or_b32 exec_lo, exec_lo, s33
	v_and_b32_e32 v28, 0xff, v156
	s_load_b128 s[4:7], s[2:3], 0x0
	s_waitcnt lgkmcnt(0)
	s_waitcnt_vscnt null, 0x0
	s_barrier
	buffer_gl0_inv
	v_mul_lo_u16 v28, 0xf1, v28
	s_mov_b32 s8, 0x134454ff
	s_mov_b32 s9, 0x3fee6f0e
	;; [unrolled: 1-line block ×4, first 2 shown]
	v_lshrrev_b16 v60, 12, v28
	s_mov_b32 s16, 0x4755a5e
	s_mov_b32 s17, 0x3fe2cf23
	;; [unrolled: 1-line block ×4, first 2 shown]
	v_mul_lo_u16 v28, v60, 17
	s_mov_b32 s18, 0x372fe950
	s_mov_b32 s19, 0x3fd3c6ef
	;; [unrolled: 1-line block ×4, first 2 shown]
	v_sub_nc_u16 v28, v156, v28
	s_delay_alu instid0(VALU_DEP_1) | instskip(NEXT) | instid1(VALU_DEP_1)
	v_and_b32_e32 v61, 0xff, v28
	v_mad_u64_u32 v[32:33], null, 0x90, v61, s[0:1]
	s_clause 0x8
	global_load_b128 v[232:235], v[32:33], off offset:32
	global_load_b128 v[240:243], v[32:33], off offset:64
	;; [unrolled: 1-line block ×4, first 2 shown]
	global_load_b128 v[56:59], v[32:33], off
	global_load_b128 v[228:231], v[32:33], off offset:16
	global_load_b128 v[224:227], v[32:33], off offset:48
	;; [unrolled: 1-line block ×4, first 2 shown]
	ds_load_b128 v[62:65], v255 offset:8160
	ds_load_b128 v[66:69], v255 offset:13600
	;; [unrolled: 1-line block ×6, first 2 shown]
	s_waitcnt vmcnt(8) lgkmcnt(5)
	v_mul_f64 v[92:93], v[62:63], v[234:235]
	s_waitcnt vmcnt(7) lgkmcnt(4)
	v_mul_f64 v[94:95], v[68:69], v[242:243]
	v_mul_f64 v[96:97], v[66:67], v[242:243]
	s_waitcnt vmcnt(6) lgkmcnt(3)
	v_mul_f64 v[98:99], v[76:77], v[238:239]
	s_waitcnt vmcnt(5) lgkmcnt(2)
	v_mul_f64 v[100:101], v[80:81], v[30:31]
	v_mul_f64 v[104:105], v[78:79], v[238:239]
	;; [unrolled: 1-line block ×4, first 2 shown]
	s_waitcnt vmcnt(4) lgkmcnt(1)
	v_mul_f64 v[106:107], v[86:87], v[58:59]
	v_mul_f64 v[108:109], v[84:85], v[58:59]
	scratch_store_b128 off, v[28:31], off offset:8 ; 16-byte Folded Spill
	v_fma_f64 v[92:93], v[64:65], v[232:233], v[92:93]
	v_fma_f64 v[94:95], v[66:67], v[240:241], -v[94:95]
	v_fma_f64 v[96:97], v[68:69], v[240:241], v[96:97]
	v_fma_f64 v[98:99], v[78:79], v[236:237], v[98:99]
	;; [unrolled: 1-line block ×3, first 2 shown]
	v_fma_f64 v[100:101], v[76:77], v[236:237], -v[104:105]
	v_fma_f64 v[70:71], v[62:63], v[232:233], -v[70:71]
	v_fma_f64 v[80:81], v[80:81], v[28:29], -v[102:103]
	ds_load_b128 v[62:65], v255 offset:10880
	ds_load_b128 v[66:69], v255 offset:16320
	;; [unrolled: 1-line block ×3, first 2 shown]
	s_waitcnt vmcnt(3) lgkmcnt(3)
	v_mul_f64 v[102:103], v[90:91], v[230:231]
	v_mul_f64 v[104:105], v[88:89], v[230:231]
	v_fma_f64 v[84:85], v[84:85], v[56:57], -v[106:107]
	v_fma_f64 v[86:87], v[86:87], v[56:57], v[108:109]
	v_and_b32_e32 v28, 0xffff, v60
	s_delay_alu instid0(VALU_DEP_1) | instskip(NEXT) | instid1(VALU_DEP_1)
	v_mul_u32_u24_e32 v28, 0xaa, v28
	v_add_lshl_u32 v244, v28, v61, 4
	s_waitcnt vmcnt(2) lgkmcnt(2)
	v_mul_f64 v[110:111], v[64:65], v[226:227]
	v_mul_f64 v[112:113], v[62:63], v[226:227]
	s_waitcnt vmcnt(1) lgkmcnt(1)
	v_mul_f64 v[114:115], v[68:69], v[222:223]
	s_waitcnt vmcnt(0) lgkmcnt(0)
	v_mul_f64 v[116:117], v[78:79], v[74:75]
	v_mul_f64 v[118:119], v[66:67], v[222:223]
	;; [unrolled: 1-line block ×3, first 2 shown]
	v_add_f64 v[138:139], v[92:93], -v[96:97]
	v_add_f64 v[106:107], v[96:97], v[98:99]
	v_add_f64 v[108:109], v[92:93], v[82:83]
	;; [unrolled: 1-line block ×3, first 2 shown]
	v_add_f64 v[130:131], v[70:71], -v[94:95]
	v_add_f64 v[122:123], v[70:71], v[80:81]
	v_add_f64 v[132:133], v[80:81], -v[100:101]
	v_fma_f64 v[88:89], v[88:89], v[228:229], -v[102:103]
	v_fma_f64 v[90:91], v[90:91], v[228:229], v[104:105]
	v_add_f64 v[134:135], v[94:95], -v[70:71]
	v_add_f64 v[136:137], v[100:101], -v[80:81]
	;; [unrolled: 1-line block ×5, first 2 shown]
	v_fma_f64 v[102:103], v[62:63], v[224:225], -v[110:111]
	v_fma_f64 v[104:105], v[64:65], v[224:225], v[112:113]
	v_fma_f64 v[66:67], v[66:67], v[220:221], -v[114:115]
	v_fma_f64 v[76:77], v[76:77], v[72:73], -v[116:117]
	v_fma_f64 v[68:69], v[68:69], v[220:221], v[118:119]
	v_fma_f64 v[78:79], v[78:79], v[72:73], v[120:121]
	v_add_f64 v[110:111], v[92:93], -v[82:83]
	v_add_f64 v[114:115], v[70:71], -v[80:81]
	;; [unrolled: 1-line block ×4, first 2 shown]
	ds_load_b128 v[62:65], v255
	v_add_f64 v[70:71], v[84:85], v[70:71]
	s_waitcnt lgkmcnt(0)
	s_waitcnt_vscnt null, 0x0
	s_barrier
	buffer_gl0_inv
	v_fma_f64 v[106:107], v[106:107], -0.5, v[86:87]
	v_fma_f64 v[108:109], v[108:109], -0.5, v[86:87]
	;; [unrolled: 1-line block ×4, first 2 shown]
	v_add_f64 v[84:85], v[86:87], v[92:93]
	v_add_f64 v[154:155], v[62:63], v[88:89]
	;; [unrolled: 1-line block ×7, first 2 shown]
	v_add_f64 v[157:158], v[90:91], -v[78:79]
	v_add_f64 v[163:164], v[88:89], -v[76:77]
	;; [unrolled: 1-line block ×4, first 2 shown]
	v_add_f64 v[70:71], v[70:71], v[94:95]
	v_fma_f64 v[146:147], v[114:115], s[2:3], v[106:107]
	v_fma_f64 v[148:149], v[116:117], s[8:9], v[108:109]
	;; [unrolled: 1-line block ×8, first 2 shown]
	v_add_f64 v[84:85], v[84:85], v[96:97]
	v_fma_f64 v[86:87], v[122:123], -0.5, v[62:63]
	v_fma_f64 v[62:63], v[124:125], -0.5, v[62:63]
	v_fma_f64 v[92:93], v[126:127], -0.5, v[64:65]
	v_fma_f64 v[64:65], v[128:129], -0.5, v[64:65]
	v_add_f64 v[122:123], v[130:131], v[132:133]
	v_add_f64 v[124:125], v[134:135], v[136:137]
	v_add_f64 v[126:127], v[138:139], v[140:141]
	v_add_f64 v[128:129], v[142:143], v[144:145]
	v_add_f64 v[138:139], v[78:79], -v[68:69]
	v_add_f64 v[140:141], v[68:69], -v[78:79]
	v_add_f64 v[70:71], v[70:71], v[100:101]
	v_fma_f64 v[130:131], v[116:117], s[10:11], v[146:147]
	v_fma_f64 v[132:133], v[114:115], s[10:11], v[148:149]
	;; [unrolled: 1-line block ×8, first 2 shown]
	v_add_f64 v[114:115], v[88:89], -v[102:103]
	v_add_f64 v[88:89], v[102:103], -v[88:89]
	;; [unrolled: 1-line block ×4, first 2 shown]
	v_add_f64 v[102:103], v[154:155], v[102:103]
	v_add_f64 v[104:105], v[161:162], v[104:105]
	v_add_f64 v[116:117], v[76:77], -v[66:67]
	v_add_f64 v[118:119], v[66:67], -v[76:77]
	v_add_f64 v[84:85], v[84:85], v[98:99]
	v_fma_f64 v[94:95], v[157:158], s[8:9], v[86:87]
	v_fma_f64 v[96:97], v[159:160], s[2:3], v[62:63]
	;; [unrolled: 1-line block ×8, first 2 shown]
	v_add_f64 v[70:71], v[70:71], v[80:81]
	v_fma_f64 v[130:131], v[126:127], s[18:19], v[130:131]
	v_fma_f64 v[132:133], v[128:129], s[18:19], v[132:133]
	v_fma_f64 v[136:137], v[122:123], s[18:19], v[136:137]
	v_fma_f64 v[112:113], v[122:123], s[18:19], v[112:113]
	v_fma_f64 v[134:135], v[124:125], s[18:19], v[134:135]
	v_fma_f64 v[110:111], v[124:125], s[18:19], v[110:111]
	v_fma_f64 v[108:109], v[128:129], s[18:19], v[108:109]
	v_fma_f64 v[106:107], v[126:127], s[18:19], v[106:107]
	v_add_f64 v[90:91], v[90:91], v[140:141]
	v_add_f64 v[66:67], v[102:103], v[66:67]
	;; [unrolled: 1-line block ×6, first 2 shown]
	v_fma_f64 v[94:95], v[159:160], s[16:17], v[94:95]
	v_fma_f64 v[96:97], v[157:158], s[16:17], v[96:97]
	;; [unrolled: 1-line block ×8, first 2 shown]
	v_mul_f64 v[102:103], v[130:131], s[16:17]
	v_mul_f64 v[104:105], v[132:133], s[8:9]
	v_mul_f64 v[120:121], v[136:137], s[20:21]
	v_mul_f64 v[122:123], v[112:113], s[10:11]
	v_mul_f64 v[118:119], v[134:135], s[18:19]
	v_mul_f64 v[124:125], v[110:111], s[2:3]
	v_mul_f64 v[126:127], v[108:109], s[18:19]
	v_mul_f64 v[128:129], v[106:107], s[20:21]
	v_add_f64 v[66:67], v[66:67], v[76:77]
	v_add_f64 v[68:69], v[68:69], v[78:79]
	;; [unrolled: 1-line block ×3, first 2 shown]
	v_fma_f64 v[94:95], v[114:115], s[18:19], v[94:95]
	v_fma_f64 v[96:97], v[88:89], s[18:19], v[96:97]
	;; [unrolled: 1-line block ×10, first 2 shown]
	v_fma_f64 v[104:105], v[106:107], s[16:17], -v[120:121]
	v_fma_f64 v[106:107], v[130:131], s[20:21], v[122:123]
	v_fma_f64 v[102:103], v[108:109], s[8:9], -v[118:119]
	v_fma_f64 v[108:109], v[132:133], s[18:19], v[124:125]
	v_fma_f64 v[110:111], v[134:135], s[2:3], -v[126:127]
	v_fma_f64 v[112:113], v[136:137], s[10:11], -v[128:129]
	v_add_f64 v[62:63], v[66:67], v[70:71]
	v_add_f64 v[66:67], v[66:67], -v[70:71]
	v_add_f64 v[64:65], v[68:69], v[76:77]
	v_add_f64 v[68:69], v[68:69], -v[76:77]
	v_add_f64 v[76:77], v[94:95], v[92:93]
	v_add_f64 v[80:81], v[96:97], v[100:101]
	;; [unrolled: 1-line block ×8, first 2 shown]
	v_add_f64 v[92:93], v[94:95], -v[92:93]
	v_add_f64 v[94:95], v[98:99], -v[106:107]
	;; [unrolled: 1-line block ×8, first 2 shown]
	v_mad_u64_u32 v[108:109], null, 0x90, v156, s[0:1]
	ds_store_b128 v244, v[62:65]
	ds_store_b128 v244, v[76:79] offset:272
	ds_store_b128 v244, v[80:83] offset:544
	;; [unrolled: 1-line block ×9, first 2 shown]
	s_waitcnt lgkmcnt(0)
	s_barrier
	buffer_gl0_inv
	s_clause 0x8
	global_load_b128 v[36:39], v[108:109], off offset:2480
	global_load_b128 v[44:47], v[108:109], off offset:2512
	;; [unrolled: 1-line block ×9, first 2 shown]
	ds_load_b128 v[100:103], v255 offset:8160
	ds_load_b128 v[104:107], v255 offset:13600
	;; [unrolled: 1-line block ×6, first 2 shown]
	s_waitcnt vmcnt(8) lgkmcnt(5)
	v_mul_f64 v[124:125], v[102:103], v[38:39]
	v_mul_f64 v[126:127], v[100:101], v[38:39]
	s_waitcnt vmcnt(7) lgkmcnt(4)
	v_mul_f64 v[128:129], v[106:107], v[46:47]
	v_mul_f64 v[130:131], v[104:105], v[46:47]
	s_waitcnt vmcnt(6) lgkmcnt(3)
	v_mul_f64 v[132:133], v[108:109], v[42:43]
	s_waitcnt vmcnt(5) lgkmcnt(2)
	v_mul_f64 v[134:135], v[112:113], v[50:51]
	v_mul_f64 v[136:137], v[114:115], v[50:51]
	;; [unrolled: 1-line block ×3, first 2 shown]
	s_waitcnt vmcnt(4) lgkmcnt(1)
	v_mul_f64 v[140:141], v[118:119], v[98:99]
	v_mul_f64 v[142:143], v[116:117], v[98:99]
	s_clause 0x3
	scratch_store_b128 off, v[36:39], off offset:56
	scratch_store_b128 off, v[40:43], off offset:72
	scratch_store_b128 off, v[44:47], off offset:88
	scratch_store_b128 off, v[48:51], off offset:104
	v_fma_f64 v[124:125], v[100:101], v[36:37], -v[124:125]
	v_fma_f64 v[126:127], v[102:103], v[36:37], v[126:127]
	v_fma_f64 v[128:129], v[104:105], v[44:45], -v[128:129]
	v_fma_f64 v[130:131], v[106:107], v[44:45], v[130:131]
	v_fma_f64 v[132:133], v[110:111], v[40:41], v[132:133]
	;; [unrolled: 1-line block ×3, first 2 shown]
	v_fma_f64 v[112:113], v[112:113], v[48:49], -v[136:137]
	v_fma_f64 v[134:135], v[108:109], v[40:41], -v[138:139]
	ds_load_b128 v[100:103], v255 offset:10880
	ds_load_b128 v[104:107], v255 offset:16320
	;; [unrolled: 1-line block ×3, first 2 shown]
	s_waitcnt vmcnt(3) lgkmcnt(3)
	v_mul_f64 v[136:137], v[122:123], v[34:35]
	v_mul_f64 v[138:139], v[120:121], v[34:35]
	v_fma_f64 v[116:117], v[116:117], v[96:97], -v[140:141]
	v_fma_f64 v[118:119], v[118:119], v[96:97], v[142:143]
	scratch_store_b128 off, v[32:35], off offset:40 ; 16-byte Folded Spill
	s_waitcnt vmcnt(2)
	scratch_store_b128 off, v[28:31], off offset:24 ; 16-byte Folded Spill
	s_waitcnt lgkmcnt(2)
	v_mul_f64 v[144:145], v[102:103], v[30:31]
	v_mul_f64 v[146:147], v[100:101], v[30:31]
	s_waitcnt vmcnt(1) lgkmcnt(1)
	v_mul_f64 v[148:149], v[106:107], v[251:252]
	s_waitcnt vmcnt(0) lgkmcnt(0)
	v_mul_f64 v[150:151], v[110:111], v[247:248]
	v_mul_f64 v[152:153], v[104:105], v[251:252]
	;; [unrolled: 1-line block ×3, first 2 shown]
	v_add_f64 v[166:167], v[124:125], -v[128:129]
	v_add_f64 v[170:171], v[128:129], -v[124:125]
	v_add_f64 v[140:141], v[130:131], v[132:133]
	v_add_f64 v[142:143], v[126:127], v[114:115]
	;; [unrolled: 1-line block ×4, first 2 shown]
	v_add_f64 v[168:169], v[112:113], -v[134:135]
	v_fma_f64 v[120:121], v[120:121], v[32:33], -v[136:137]
	v_fma_f64 v[122:123], v[122:123], v[32:33], v[138:139]
	v_add_f64 v[172:173], v[134:135], -v[112:113]
	v_add_f64 v[174:175], v[126:127], -v[130:131]
	;; [unrolled: 1-line block ×5, first 2 shown]
	v_fma_f64 v[136:137], v[100:101], v[28:29], -v[144:145]
	v_fma_f64 v[138:139], v[102:103], v[28:29], v[146:147]
	v_fma_f64 v[104:105], v[104:105], v[249:250], -v[148:149]
	v_fma_f64 v[108:109], v[108:109], v[245:246], -v[150:151]
	v_fma_f64 v[106:107], v[106:107], v[249:250], v[152:153]
	v_fma_f64 v[110:111], v[110:111], v[245:246], v[154:155]
	v_add_f64 v[144:145], v[126:127], -v[114:115]
	v_add_f64 v[146:147], v[130:131], -v[132:133]
	;; [unrolled: 1-line block ×4, first 2 shown]
	ds_load_b128 v[100:103], v255
	v_fma_f64 v[140:141], v[140:141], -0.5, v[118:119]
	v_fma_f64 v[142:143], v[142:143], -0.5, v[118:119]
	;; [unrolled: 1-line block ×4, first 2 shown]
	v_add_f64 v[116:117], v[116:117], v[124:125]
	v_add_f64 v[118:119], v[118:119], v[126:127]
	s_waitcnt lgkmcnt(0)
	v_add_f64 v[190:191], v[100:101], v[120:121]
	v_add_f64 v[196:197], v[102:103], v[122:123]
	;; [unrolled: 1-line block ×6, first 2 shown]
	v_add_f64 v[192:193], v[122:123], -v[110:111]
	v_add_f64 v[194:195], v[138:139], -v[106:107]
	v_add_f64 v[198:199], v[120:121], -v[108:109]
	v_add_f64 v[200:201], v[136:137], -v[104:105]
	v_fma_f64 v[182:183], v[148:149], s[2:3], v[140:141]
	v_fma_f64 v[184:185], v[150:151], s[8:9], v[142:143]
	;; [unrolled: 1-line block ×8, first 2 shown]
	v_add_f64 v[116:117], v[116:117], v[128:129]
	v_add_f64 v[118:119], v[118:119], v[130:131]
	v_fma_f64 v[124:125], v[158:159], -0.5, v[100:101]
	v_fma_f64 v[100:101], v[160:161], -0.5, v[100:101]
	;; [unrolled: 1-line block ×4, first 2 shown]
	v_add_f64 v[158:159], v[166:167], v[168:169]
	v_add_f64 v[160:161], v[170:171], v[172:173]
	;; [unrolled: 1-line block ×4, first 2 shown]
	v_add_f64 v[174:175], v[110:111], -v[106:107]
	v_add_f64 v[176:177], v[106:107], -v[110:111]
	v_fma_f64 v[166:167], v[150:151], s[10:11], v[182:183]
	v_fma_f64 v[168:169], v[148:149], s[10:11], v[184:185]
	;; [unrolled: 1-line block ×8, first 2 shown]
	v_add_f64 v[148:149], v[120:121], -v[136:137]
	v_add_f64 v[150:151], v[108:109], -v[104:105]
	;; [unrolled: 1-line block ×6, first 2 shown]
	v_add_f64 v[136:137], v[190:191], v[136:137]
	v_add_f64 v[138:139], v[196:197], v[138:139]
	;; [unrolled: 1-line block ×4, first 2 shown]
	v_fma_f64 v[128:129], v[192:193], s[8:9], v[124:125]
	v_fma_f64 v[124:125], v[192:193], s[2:3], v[124:125]
	;; [unrolled: 1-line block ×16, first 2 shown]
	v_add_f64 v[148:149], v[148:149], v[150:151]
	v_add_f64 v[120:121], v[120:121], v[152:153]
	;; [unrolled: 1-line block ×6, first 2 shown]
	v_fma_f64 v[128:129], v[194:195], s[16:17], v[128:129]
	v_fma_f64 v[124:125], v[194:195], s[10:11], v[124:125]
	;; [unrolled: 1-line block ×8, first 2 shown]
	v_mul_f64 v[136:137], v[166:167], s[16:17]
	v_mul_f64 v[138:139], v[168:169], s[8:9]
	;; [unrolled: 1-line block ×8, first 2 shown]
	v_add_f64 v[104:105], v[104:105], v[108:109]
	v_add_f64 v[106:107], v[106:107], v[110:111]
	;; [unrolled: 1-line block ×4, first 2 shown]
	v_fma_f64 v[128:129], v[148:149], s[18:19], v[128:129]
	v_fma_f64 v[148:149], v[148:149], s[18:19], v[124:125]
	;; [unrolled: 1-line block ×10, first 2 shown]
	v_fma_f64 v[132:133], v[142:143], s[8:9], -v[152:153]
	v_fma_f64 v[138:139], v[140:141], s[16:17], -v[154:155]
	v_fma_f64 v[140:141], v[166:167], s[20:21], v[158:159]
	v_fma_f64 v[142:143], v[168:169], s[18:19], v[160:161]
	v_fma_f64 v[144:145], v[170:171], s[2:3], -v[162:163]
	v_fma_f64 v[146:147], v[172:173], s[10:11], -v[164:165]
	v_add_f64 v[100:101], v[104:105], v[108:109]
	v_add_f64 v[102:103], v[106:107], v[110:111]
	v_add_f64 v[120:121], v[104:105], -v[108:109]
	v_add_f64 v[122:123], v[106:107], -v[110:111]
	v_add_f64 v[104:105], v[128:129], v[124:125]
	v_add_f64 v[108:109], v[130:131], v[126:127]
	;; [unrolled: 1-line block ×8, first 2 shown]
	v_add_f64 v[124:125], v[128:129], -v[124:125]
	v_add_f64 v[128:129], v[130:131], -v[126:127]
	;; [unrolled: 1-line block ×8, first 2 shown]
	ds_store_b128 v255, v[100:103]
	ds_store_b128 v255, v[104:107] offset:2720
	ds_store_b128 v255, v[108:111] offset:5440
	;; [unrolled: 1-line block ×9, first 2 shown]
	s_waitcnt lgkmcnt(0)
	s_waitcnt_vscnt null, 0x0
	s_barrier
	buffer_gl0_inv
	s_and_saveexec_b32 s1, vcc_lo
	s_cbranch_execz .LBB0_9
; %bb.8:
	v_add_co_u32 v158, s0, s12, v255
	s_delay_alu instid0(VALU_DEP_1) | instskip(NEXT) | instid1(VALU_DEP_2)
	v_add_co_ci_u32_e64 v159, null, s13, 0, s0
	v_add_co_u32 v140, s0, 0x6000, v158
	s_delay_alu instid0(VALU_DEP_1) | instskip(SKIP_1) | instid1(VALU_DEP_1)
	v_add_co_ci_u32_e64 v141, s0, 0, v159, s0
	v_add_co_u32 v142, s0, 0x6a40, v158
	v_add_co_ci_u32_e64 v143, s0, 0, v159, s0
	v_add_co_u32 v144, s0, 0x7000, v158
	s_clause 0x2
	global_load_b128 v[152:155], v[140:141], off offset:2624
	global_load_b128 v[148:151], v[142:143], off offset:1600
	;; [unrolled: 1-line block ×3, first 2 shown]
	v_add_co_ci_u32_e64 v145, s0, 0, v159, s0
	v_add_co_u32 v168, s0, 0x8000, v158
	s_delay_alu instid0(VALU_DEP_1)
	v_add_co_ci_u32_e64 v169, s0, 0, v159, s0
	s_clause 0x3
	global_load_b128 v[144:147], v[144:145], off offset:3328
	global_load_b128 v[160:163], v[168:169], off offset:832
	global_load_b128 v[164:167], v[168:169], off offset:2432
	global_load_b128 v[168:171], v[168:169], off offset:4032
	v_add_co_u32 v176, s0, 0x9000, v158
	s_delay_alu instid0(VALU_DEP_1)
	v_add_co_ci_u32_e64 v177, s0, 0, v159, s0
	s_clause 0x1
	global_load_b128 v[172:175], v[176:177], off offset:1536
	global_load_b128 v[176:179], v[176:177], off offset:3136
	ds_load_b128 v[180:183], v255
	ds_load_b128 v[184:187], v255 offset:1600
	v_add_co_u32 v200, s0, 0xa000, v158
	s_delay_alu instid0(VALU_DEP_1)
	v_add_co_ci_u32_e64 v201, s0, 0, v159, s0
	ds_load_b128 v[192:195], v255 offset:3200
	global_load_b128 v[188:191], v[200:201], off offset:640
	s_waitcnt vmcnt(9) lgkmcnt(2)
	v_mul_f64 v[196:197], v[182:183], v[154:155]
	s_waitcnt vmcnt(8) lgkmcnt(1)
	v_mul_f64 v[198:199], v[186:187], v[150:151]
	v_mul_f64 v[154:155], v[180:181], v[154:155]
	v_mul_f64 v[202:203], v[184:185], v[150:151]
	s_delay_alu instid0(VALU_DEP_4) | instskip(NEXT) | instid1(VALU_DEP_4)
	v_fma_f64 v[150:151], v[180:181], v[152:153], -v[196:197]
	v_fma_f64 v[184:185], v[184:185], v[148:149], -v[198:199]
	global_load_b128 v[196:199], v[200:201], off offset:2240
	v_fma_f64 v[152:153], v[182:183], v[152:153], v[154:155]
	ds_load_b128 v[180:183], v255 offset:4800
	s_waitcnt vmcnt(8) lgkmcnt(1)
	v_mul_f64 v[154:155], v[194:195], v[142:143]
	v_mul_f64 v[142:143], v[192:193], v[142:143]
	v_fma_f64 v[186:187], v[186:187], v[148:149], v[202:203]
	global_load_b128 v[200:203], v[200:201], off offset:3840
	s_waitcnt vmcnt(8) lgkmcnt(0)
	v_mul_f64 v[148:149], v[182:183], v[146:147]
	v_fma_f64 v[192:193], v[192:193], v[140:141], -v[154:155]
	v_mul_f64 v[154:155], v[180:181], v[146:147]
	v_fma_f64 v[194:195], v[194:195], v[140:141], v[142:143]
	ds_load_b128 v[140:143], v255 offset:6400
	v_fma_f64 v[146:147], v[180:181], v[144:145], -v[148:149]
	v_fma_f64 v[148:149], v[182:183], v[144:145], v[154:155]
	ds_load_b128 v[180:183], v255 offset:8000
	s_waitcnt vmcnt(7) lgkmcnt(1)
	v_mul_f64 v[144:145], v[142:143], v[162:163]
	v_mul_f64 v[154:155], v[140:141], v[162:163]
	s_waitcnt vmcnt(6) lgkmcnt(0)
	v_mul_f64 v[204:205], v[182:183], v[166:167]
	s_delay_alu instid0(VALU_DEP_3) | instskip(SKIP_1) | instid1(VALU_DEP_4)
	v_fma_f64 v[140:141], v[140:141], v[160:161], -v[144:145]
	v_mul_f64 v[144:145], v[180:181], v[166:167]
	v_fma_f64 v[142:143], v[142:143], v[160:161], v[154:155]
	ds_load_b128 v[160:163], v255 offset:9600
	v_fma_f64 v[180:181], v[180:181], v[164:165], -v[204:205]
	v_fma_f64 v[182:183], v[182:183], v[164:165], v[144:145]
	ds_load_b128 v[164:167], v255 offset:11200
	s_waitcnt vmcnt(5) lgkmcnt(1)
	v_mul_f64 v[144:145], v[162:163], v[170:171]
	v_mul_f64 v[154:155], v[160:161], v[170:171]
	s_waitcnt vmcnt(4) lgkmcnt(0)
	v_mul_f64 v[204:205], v[166:167], v[174:175]
	s_delay_alu instid0(VALU_DEP_3) | instskip(SKIP_1) | instid1(VALU_DEP_4)
	;; [unrolled: 13-line block ×3, first 2 shown]
	v_fma_f64 v[168:169], v[168:169], v[176:177], -v[144:145]
	v_mul_f64 v[144:145], v[172:173], v[190:191]
	v_fma_f64 v[170:171], v[170:171], v[176:177], v[154:155]
	ds_load_b128 v[176:179], v255 offset:16000
	v_fma_f64 v[172:173], v[172:173], v[188:189], -v[204:205]
	v_add_co_u32 v204, s0, 0xb000, v158
	s_delay_alu instid0(VALU_DEP_1)
	v_add_co_ci_u32_e64 v205, s0, 0, v159, s0
	v_fma_f64 v[174:175], v[174:175], v[188:189], v[144:145]
	ds_load_b128 v[188:191], v255 offset:17600
	s_waitcnt vmcnt(1) lgkmcnt(1)
	v_mul_f64 v[144:145], v[178:179], v[198:199]
	v_mul_f64 v[154:155], v[176:177], v[198:199]
	s_delay_alu instid0(VALU_DEP_2) | instskip(NEXT) | instid1(VALU_DEP_2)
	v_fma_f64 v[176:177], v[176:177], v[196:197], -v[144:145]
	v_fma_f64 v[178:179], v[178:179], v[196:197], v[154:155]
	global_load_b128 v[196:199], v[204:205], off offset:1344
	s_waitcnt vmcnt(1) lgkmcnt(0)
	v_mul_f64 v[144:145], v[190:191], v[202:203]
	v_mul_f64 v[154:155], v[188:189], v[202:203]
	s_delay_alu instid0(VALU_DEP_2) | instskip(NEXT) | instid1(VALU_DEP_2)
	v_fma_f64 v[188:189], v[188:189], v[200:201], -v[144:145]
	v_fma_f64 v[190:191], v[190:191], v[200:201], v[154:155]
	global_load_b128 v[200:203], v[204:205], off offset:2944
	ds_load_b128 v[204:207], v255 offset:19200
	ds_load_b128 v[208:211], v255 offset:20800
	s_waitcnt vmcnt(1) lgkmcnt(1)
	v_mul_f64 v[144:145], v[206:207], v[198:199]
	v_mul_f64 v[154:155], v[204:205], v[198:199]
	s_delay_alu instid0(VALU_DEP_2) | instskip(NEXT) | instid1(VALU_DEP_2)
	v_fma_f64 v[204:205], v[204:205], v[196:197], -v[144:145]
	v_fma_f64 v[206:207], v[206:207], v[196:197], v[154:155]
	s_waitcnt vmcnt(0) lgkmcnt(0)
	v_mul_f64 v[144:145], v[210:211], v[202:203]
	v_mul_f64 v[154:155], v[208:209], v[202:203]
	s_delay_alu instid0(VALU_DEP_2) | instskip(SKIP_1) | instid1(VALU_DEP_1)
	v_fma_f64 v[196:197], v[208:209], v[200:201], -v[144:145]
	v_add_co_u32 v144, s0, 0xc000, v158
	v_add_co_ci_u32_e64 v145, s0, 0, v159, s0
	s_delay_alu instid0(VALU_DEP_4)
	v_fma_f64 v[198:199], v[210:211], v[200:201], v[154:155]
	s_clause 0x1
	global_load_b128 v[200:203], v[144:145], off offset:448
	global_load_b128 v[208:211], v[144:145], off offset:2048
	ds_load_b128 v[212:215], v255 offset:22400
	ds_load_b128 v[216:219], v255 offset:24000
	s_waitcnt vmcnt(1) lgkmcnt(1)
	v_mul_f64 v[154:155], v[214:215], v[202:203]
	v_mul_f64 v[158:159], v[212:213], v[202:203]
	s_delay_alu instid0(VALU_DEP_2) | instskip(NEXT) | instid1(VALU_DEP_2)
	v_fma_f64 v[212:213], v[212:213], v[200:201], -v[154:155]
	v_fma_f64 v[214:215], v[214:215], v[200:201], v[158:159]
	s_waitcnt vmcnt(0) lgkmcnt(0)
	v_mul_f64 v[154:155], v[218:219], v[210:211]
	v_mul_f64 v[158:159], v[216:217], v[210:211]
	s_delay_alu instid0(VALU_DEP_2) | instskip(NEXT) | instid1(VALU_DEP_2)
	v_fma_f64 v[200:201], v[216:217], v[208:209], -v[154:155]
	v_fma_f64 v[202:203], v[218:219], v[208:209], v[158:159]
	global_load_b128 v[208:211], v[144:145], off offset:3648
	ds_load_b128 v[216:219], v255 offset:25600
	s_waitcnt vmcnt(0) lgkmcnt(0)
	v_mul_f64 v[144:145], v[218:219], v[210:211]
	v_mul_f64 v[154:155], v[216:217], v[210:211]
	s_delay_alu instid0(VALU_DEP_2) | instskip(NEXT) | instid1(VALU_DEP_2)
	v_fma_f64 v[216:217], v[216:217], v[208:209], -v[144:145]
	v_fma_f64 v[218:219], v[218:219], v[208:209], v[154:155]
	ds_store_b128 v255, v[150:153]
	ds_store_b128 v255, v[184:187] offset:1600
	ds_store_b128 v255, v[192:195] offset:3200
	;; [unrolled: 1-line block ×16, first 2 shown]
.LBB0_9:
	s_or_b32 exec_lo, exec_lo, s1
	s_waitcnt lgkmcnt(0)
	s_barrier
	buffer_gl0_inv
	s_and_saveexec_b32 s0, vcc_lo
	s_cbranch_execz .LBB0_11
; %bb.10:
	ds_load_b128 v[100:103], v255
	ds_load_b128 v[104:107], v255 offset:1600
	ds_load_b128 v[108:111], v255 offset:3200
	;; [unrolled: 1-line block ×16, first 2 shown]
.LBB0_11:
	s_or_b32 exec_lo, exec_lo, s0
	s_waitcnt lgkmcnt(0)
	s_barrier
	buffer_gl0_inv
	s_and_saveexec_b32 s33, vcc_lo
	s_cbranch_execz .LBB0_13
; %bb.12:
	v_add_f64 v[142:143], v[100:101], v[104:105]
	v_add_f64 v[140:141], v[102:103], v[106:107]
	v_add_f64 v[150:151], v[108:109], -v[4:5]
	s_mov_b32 s24, 0x6c9a05f6
	s_mov_b32 s25, 0xbfe9895b
	;; [unrolled: 1-line block ×35, first 2 shown]
	v_add_f64 v[142:143], v[142:143], v[108:109]
	v_add_f64 v[140:141], v[140:141], v[110:111]
	;; [unrolled: 1-line block ×3, first 2 shown]
	s_mov_b32 s3, 0xbfeb34fa
	s_mov_b32 s1, 0xbfef7484
	s_mov_b32 s23, 0x3fedd6d0
	v_dual_mov_b32 v206, v220 :: v_dual_mov_b32 v207, v221
	v_dual_mov_b32 v208, v222 :: v_dual_mov_b32 v209, v223
	s_mov_b32 s51, 0x3fe9895b
	s_mov_b32 s50, s24
	;; [unrolled: 1-line block ×4, first 2 shown]
	v_dual_mov_b32 v210, v245 :: v_dual_mov_b32 v211, v246
	v_dual_mov_b32 v212, v247 :: v_dual_mov_b32 v213, v248
	;; [unrolled: 1-line block ×4, first 2 shown]
	v_mov_b32_e32 v254, v156
	v_add_f64 v[142:143], v[142:143], v[112:113]
	v_add_f64 v[140:141], v[140:141], v[114:115]
	s_delay_alu instid0(VALU_DEP_2) | instskip(NEXT) | instid1(VALU_DEP_2)
	v_add_f64 v[142:143], v[142:143], v[116:117]
	v_add_f64 v[140:141], v[140:141], v[118:119]
	s_delay_alu instid0(VALU_DEP_2) | instskip(NEXT) | instid1(VALU_DEP_2)
	;; [unrolled: 3-line block ×5, first 2 shown]
	v_add_f64 v[146:147], v[142:143], v[136:137]
	v_add_f64 v[144:145], v[140:141], v[138:139]
	v_add_f64 v[142:143], v[136:137], -v[132:133]
	v_add_f64 v[140:141], v[138:139], v[134:135]
	v_add_f64 v[136:137], v[136:137], v[132:133]
	v_add_f64 v[138:139], v[138:139], -v[134:135]
	v_add_f64 v[146:147], v[146:147], v[132:133]
	v_add_f64 v[144:145], v[144:145], v[134:135]
	v_add_f64 v[134:135], v[128:129], -v[24:25]
	v_add_f64 v[132:133], v[130:131], v[26:27]
	v_add_f64 v[128:129], v[128:129], v[24:25]
	v_add_f64 v[130:131], v[130:131], -v[26:27]
	v_mul_f64 v[36:37], v[142:143], s[44:45]
	v_mul_f64 v[32:33], v[138:139], s[44:45]
	;; [unrolled: 1-line block ×3, first 2 shown]
	v_add_f64 v[146:147], v[146:147], v[24:25]
	v_add_f64 v[148:149], v[144:145], v[26:27]
	v_add_f64 v[144:145], v[124:125], -v[20:21]
	v_add_f64 v[26:27], v[126:127], v[22:23]
	v_add_f64 v[24:25], v[124:125], v[20:21]
	v_add_f64 v[124:125], v[126:127], -v[22:23]
	v_add_f64 v[126:127], v[120:121], -v[16:17]
	v_mul_f64 v[84:85], v[130:131], s[42:43]
	v_fma_f64 v[62:63], v[140:141], s[22:23], -v[60:61]
	v_mul_f64 v[156:157], v[130:131], s[50:51]
	v_add_f64 v[146:147], v[146:147], v[20:21]
	v_add_f64 v[148:149], v[148:149], v[22:23]
	;; [unrolled: 1-line block ×4, first 2 shown]
	v_add_f64 v[120:121], v[122:123], -v[18:19]
	v_add_f64 v[122:123], v[116:117], -v[12:13]
	v_mul_f64 v[52:53], v[144:145], s[52:53]
	v_mul_f64 v[80:81], v[124:125], s[28:29]
	v_fma_f64 v[86:87], v[128:129], s[16:17], v[84:85]
	v_add_f64 v[146:147], v[146:147], v[16:17]
	v_add_f64 v[148:149], v[148:149], v[18:19]
	;; [unrolled: 1-line block ×4, first 2 shown]
	v_add_f64 v[118:119], v[118:119], -v[14:15]
	v_add_f64 v[116:117], v[114:115], v[10:11]
	v_add_f64 v[114:115], v[114:115], -v[10:11]
	v_mul_f64 v[44:45], v[122:123], s[30:31]
	v_fma_f64 v[54:55], v[26:27], s[10:11], -v[52:53]
	v_mul_f64 v[76:77], v[120:121], s[34:35]
	v_fma_f64 v[82:83], v[24:25], s[22:23], v[80:81]
	v_mul_f64 v[92:93], v[122:123], s[40:41]
	v_add_f64 v[12:13], v[146:147], v[12:13]
	v_add_f64 v[14:15], v[148:149], v[14:15]
	v_add_f64 v[146:147], v[112:113], -v[8:9]
	v_add_f64 v[112:113], v[112:113], v[8:9]
	v_add_f64 v[148:149], v[110:111], -v[6:7]
	v_add_f64 v[110:111], v[110:111], v[6:7]
	v_mul_f64 v[72:73], v[118:119], s[52:53]
	v_fma_f64 v[46:47], v[18:19], s[0:1], -v[44:45]
	v_mul_f64 v[88:89], v[114:115], s[52:53]
	v_fma_f64 v[78:79], v[20:21], s[20:21], v[76:77]
	v_fma_f64 v[94:95], v[18:19], s[22:23], -v[92:93]
	v_add_f64 v[8:9], v[12:13], v[8:9]
	v_add_f64 v[10:11], v[14:15], v[10:11]
	;; [unrolled: 1-line block ×4, first 2 shown]
	v_mul_f64 v[40:41], v[146:147], s[24:25]
	v_mul_f64 v[64:65], v[148:149], s[24:25]
	v_fma_f64 v[74:75], v[16:17], s[10:11], v[72:73]
	v_fma_f64 v[90:91], v[112:113], s[10:11], v[88:89]
	v_add_f64 v[4:5], v[8:9], v[4:5]
	v_add_f64 v[8:9], v[104:105], -v[0:1]
	v_add_f64 v[6:7], v[10:11], v[6:7]
	v_add_f64 v[10:11], v[106:107], -v[2:3]
	v_fma_f64 v[42:43], v[116:117], s[8:9], -v[40:41]
	v_fma_f64 v[66:67], v[108:109], s[8:9], v[64:65]
	v_add_f64 v[0:1], v[4:5], v[0:1]
	v_mul_f64 v[104:105], v[8:9], s[24:25]
	v_add_f64 v[2:3], v[6:7], v[2:3]
	v_mul_f64 v[106:107], v[8:9], s[46:47]
	v_mul_f64 v[180:181], v[10:11], s[46:47]
	;; [unrolled: 1-line block ×13, first 2 shown]
	v_fma_f64 v[164:165], v[12:13], s[8:9], v[104:105]
	v_fma_f64 v[104:105], v[12:13], s[8:9], -v[104:105]
	scratch_store_b128 off, v[0:3], off offset:124 ; 16-byte Folded Spill
	v_fma_f64 v[166:167], v[12:13], s[10:11], v[106:107]
	v_fma_f64 v[194:195], v[14:15], s[10:11], -v[180:181]
	v_fma_f64 v[168:169], v[12:13], s[16:17], v[152:153]
	v_fma_f64 v[196:197], v[14:15], s[16:17], -v[182:183]
	v_fma_f64 v[170:171], v[12:13], s[18:19], -v[154:155]
	v_fma_f64 v[154:155], v[12:13], s[18:19], v[154:155]
	v_fma_f64 v[198:199], v[14:15], s[18:19], v[184:185]
	v_fma_f64 v[184:185], v[14:15], s[18:19], -v[184:185]
	v_fma_f64 v[172:173], v[12:13], s[20:21], -v[158:159]
	v_fma_f64 v[158:159], v[12:13], s[20:21], v[158:159]
	v_fma_f64 v[200:201], v[14:15], s[20:21], v[186:187]
	v_fma_f64 v[186:187], v[14:15], s[20:21], -v[186:187]
	v_fma_f64 v[160:161], v[12:13], s[0:1], v[4:5]
	v_fma_f64 v[4:5], v[12:13], s[0:1], -v[4:5]
	;; [unrolled: 2-line block ×3, first 2 shown]
	v_fma_f64 v[106:107], v[12:13], s[10:11], -v[106:107]
	v_fma_f64 v[152:153], v[12:13], s[16:17], -v[152:153]
	;; [unrolled: 1-line block ×3, first 2 shown]
	v_fma_f64 v[8:9], v[12:13], s[22:23], v[8:9]
	v_mul_f64 v[12:13], v[10:11], s[30:31]
	v_mul_f64 v[10:11], v[10:11], s[28:29]
	v_fma_f64 v[190:191], v[14:15], s[2:3], -v[176:177]
	v_fma_f64 v[176:177], v[14:15], s[2:3], v[176:177]
	v_fma_f64 v[192:193], v[14:15], s[8:9], -v[178:179]
	v_fma_f64 v[178:179], v[14:15], s[8:9], v[178:179]
	v_fma_f64 v[180:181], v[14:15], s[10:11], v[180:181]
	v_fma_f64 v[182:183], v[14:15], s[16:17], v[182:183]
	v_add_f64 v[164:165], v[102:103], v[164:165]
	v_add_f64 v[0:1], v[102:103], v[104:105]
	;; [unrolled: 1-line block ×8, first 2 shown]
	v_mul_f64 v[106:107], v[148:149], s[42:43]
	v_fma_f64 v[188:189], v[14:15], s[0:1], -v[12:13]
	v_fma_f64 v[12:13], v[14:15], s[0:1], v[12:13]
	v_fma_f64 v[202:203], v[14:15], s[22:23], v[10:11]
	v_fma_f64 v[10:11], v[14:15], s[22:23], -v[10:11]
	v_add_f64 v[14:15], v[102:103], v[160:161]
	v_add_f64 v[190:191], v[100:101], v[190:191]
	;; [unrolled: 1-line block ×7, first 2 shown]
	scratch_store_b64 off, v[0:1], off offset:284 ; 8-byte Folded Spill
	v_add_f64 v[0:1], v[102:103], v[166:167]
	v_add_f64 v[166:167], v[102:103], v[172:173]
	;; [unrolled: 1-line block ×3, first 2 shown]
	v_fma_f64 v[38:39], v[108:109], s[16:17], v[106:107]
	v_add_f64 v[160:161], v[100:101], v[188:189]
	v_add_f64 v[188:189], v[102:103], v[4:5]
	v_add_f64 v[12:13], v[100:101], v[12:13]
	v_add_f64 v[172:173], v[100:101], v[202:203]
	scratch_store_b64 off, v[0:1], off offset:276 ; 8-byte Folded Spill
	v_add_f64 v[0:1], v[100:101], v[194:195]
	scratch_store_b64 off, v[0:1], off offset:268 ; 8-byte Folded Spill
	v_add_f64 v[0:1], v[102:103], v[168:169]
	v_add_f64 v[168:169], v[102:103], v[174:175]
	;; [unrolled: 1-line block ×3, first 2 shown]
	v_mul_f64 v[200:201], v[144:145], s[24:25]
	scratch_store_b64 off, v[0:1], off offset:244 ; 8-byte Folded Spill
	v_add_f64 v[0:1], v[100:101], v[196:197]
	v_dual_mov_b32 v194, v224 :: v_dual_mov_b32 v195, v225
	v_dual_mov_b32 v196, v226 :: v_dual_mov_b32 v197, v227
	v_mul_f64 v[224:225], v[142:143], s[26:27]
	v_mul_f64 v[226:227], v[138:139], s[26:27]
	v_add_f64 v[38:39], v[38:39], v[174:175]
	scratch_store_b64 off, v[0:1], off offset:236 ; 8-byte Folded Spill
	v_add_f64 v[0:1], v[102:103], v[154:155]
	scratch_store_b64 off, v[0:1], off offset:228 ; 8-byte Folded Spill
	v_add_f64 v[0:1], v[100:101], v[184:185]
	v_mul_f64 v[184:185], v[130:131], s[38:39]
	scratch_store_b64 off, v[0:1], off offset:220 ; 8-byte Folded Spill
	v_add_f64 v[0:1], v[102:103], v[158:159]
	scratch_store_b64 off, v[0:1], off offset:196 ; 8-byte Folded Spill
	v_add_f64 v[0:1], v[100:101], v[186:187]
	;; [unrolled: 2-line block ×3, first 2 shown]
	v_mul_f64 v[8:9], v[150:151], s[40:41]
	v_mul_f64 v[102:103], v[138:139], s[30:31]
	scratch_store_b64 off, v[0:1], off offset:180 ; 8-byte Folded Spill
	v_fma_f64 v[4:5], v[110:111], s[22:23], v[8:9]
	v_add_f64 v[0:1], v[100:101], v[10:11]
	v_mul_f64 v[10:11], v[148:149], s[40:41]
	v_fma_f64 v[8:9], v[110:111], s[22:23], -v[8:9]
	s_delay_alu instid0(VALU_DEP_4) | instskip(SKIP_1) | instid1(VALU_DEP_4)
	v_add_f64 v[4:5], v[4:5], v[14:15]
	v_mul_f64 v[14:15], v[146:147], s[38:39]
	v_fma_f64 v[6:7], v[108:109], s[22:23], -v[10:11]
	v_fma_f64 v[10:11], v[108:109], s[22:23], v[10:11]
	v_add_f64 v[8:9], v[8:9], v[188:189]
	scratch_store_b64 off, v[0:1], off offset:172 ; 8-byte Folded Spill
	v_fma_f64 v[152:153], v[116:117], s[2:3], v[14:15]
	v_add_f64 v[6:7], v[6:7], v[160:161]
	v_add_f64 v[10:11], v[10:11], v[12:13]
	v_fma_f64 v[12:13], v[116:117], s[2:3], -v[14:15]
	v_fma_f64 v[14:15], v[136:137], s[16:17], v[226:227]
	v_add_f64 v[4:5], v[152:153], v[4:5]
	v_mul_f64 v[152:153], v[114:115], s[38:39]
	s_delay_alu instid0(VALU_DEP_4) | instskip(NEXT) | instid1(VALU_DEP_2)
	v_add_f64 v[8:9], v[12:13], v[8:9]
	v_fma_f64 v[154:155], v[112:113], s[2:3], -v[152:153]
	v_fma_f64 v[12:13], v[112:113], s[2:3], v[152:153]
	v_mul_f64 v[152:153], v[150:151], s[44:45]
	s_delay_alu instid0(VALU_DEP_3) | instskip(SKIP_1) | instid1(VALU_DEP_4)
	v_add_f64 v[6:7], v[154:155], v[6:7]
	v_mul_f64 v[154:155], v[122:123], s[34:35]
	v_add_f64 v[10:11], v[12:13], v[10:11]
	s_delay_alu instid0(VALU_DEP_2) | instskip(SKIP_2) | instid1(VALU_DEP_3)
	v_fma_f64 v[158:159], v[18:19], s[20:21], v[154:155]
	v_fma_f64 v[12:13], v[18:19], s[20:21], -v[154:155]
	v_mul_f64 v[154:155], v[148:149], s[44:45]
	v_add_f64 v[4:5], v[158:159], v[4:5]
	v_mul_f64 v[158:159], v[118:119], s[34:35]
	s_delay_alu instid0(VALU_DEP_4) | instskip(NEXT) | instid1(VALU_DEP_2)
	v_add_f64 v[8:9], v[12:13], v[8:9]
	v_fma_f64 v[160:161], v[16:17], s[20:21], -v[158:159]
	v_fma_f64 v[12:13], v[16:17], s[20:21], v[158:159]
	v_mul_f64 v[158:159], v[146:147], s[42:43]
	s_delay_alu instid0(VALU_DEP_3) | instskip(SKIP_1) | instid1(VALU_DEP_4)
	v_add_f64 v[6:7], v[160:161], v[6:7]
	v_mul_f64 v[160:161], v[126:127], s[24:25]
	v_add_f64 v[10:11], v[12:13], v[10:11]
	s_delay_alu instid0(VALU_DEP_2) | instskip(SKIP_3) | instid1(VALU_DEP_4)
	v_fma_f64 v[186:187], v[22:23], s[8:9], v[160:161]
	v_fma_f64 v[12:13], v[22:23], s[8:9], -v[160:161]
	v_fma_f64 v[160:161], v[116:117], s[16:17], v[158:159]
	v_fma_f64 v[158:159], v[116:117], s[16:17], -v[158:159]
	v_add_f64 v[4:5], v[186:187], v[4:5]
	v_mul_f64 v[186:187], v[120:121], s[24:25]
	v_add_f64 v[8:9], v[12:13], v[8:9]
	s_delay_alu instid0(VALU_DEP_2) | instskip(SKIP_1) | instid1(VALU_DEP_2)
	v_fma_f64 v[202:203], v[20:21], s[8:9], -v[186:187]
	v_fma_f64 v[12:13], v[20:21], s[8:9], v[186:187]
	v_add_f64 v[6:7], v[202:203], v[6:7]
	v_mul_f64 v[202:203], v[144:145], s[44:45]
	s_delay_alu instid0(VALU_DEP_3) | instskip(NEXT) | instid1(VALU_DEP_2)
	v_add_f64 v[10:11], v[12:13], v[10:11]
	v_fma_f64 v[216:217], v[26:27], s[18:19], v[202:203]
	v_fma_f64 v[12:13], v[26:27], s[18:19], -v[202:203]
	s_delay_alu instid0(VALU_DEP_2) | instskip(SKIP_1) | instid1(VALU_DEP_3)
	v_add_f64 v[4:5], v[216:217], v[4:5]
	v_mul_f64 v[216:217], v[124:125], s[44:45]
	v_add_f64 v[8:9], v[12:13], v[8:9]
	s_delay_alu instid0(VALU_DEP_2) | instskip(SKIP_1) | instid1(VALU_DEP_2)
	v_fma_f64 v[218:219], v[24:25], s[18:19], -v[216:217]
	v_fma_f64 v[12:13], v[24:25], s[18:19], v[216:217]
	v_add_f64 v[6:7], v[218:219], v[6:7]
	v_mul_f64 v[218:219], v[134:135], s[46:47]
	s_delay_alu instid0(VALU_DEP_3) | instskip(NEXT) | instid1(VALU_DEP_2)
	v_add_f64 v[10:11], v[12:13], v[10:11]
	v_fma_f64 v[220:221], v[132:133], s[10:11], v[218:219]
	v_fma_f64 v[12:13], v[132:133], s[10:11], -v[218:219]
	s_delay_alu instid0(VALU_DEP_2) | instskip(SKIP_1) | instid1(VALU_DEP_3)
	v_add_f64 v[4:5], v[220:221], v[4:5]
	v_mul_f64 v[220:221], v[130:131], s[46:47]
	v_add_f64 v[8:9], v[12:13], v[8:9]
	s_delay_alu instid0(VALU_DEP_2) | instskip(SKIP_1) | instid1(VALU_DEP_2)
	v_fma_f64 v[222:223], v[128:129], s[10:11], -v[220:221]
	v_fma_f64 v[12:13], v[128:129], s[10:11], v[220:221]
	v_add_f64 v[222:223], v[222:223], v[6:7]
	v_fma_f64 v[6:7], v[140:141], s[16:17], v[224:225]
	s_delay_alu instid0(VALU_DEP_3) | instskip(SKIP_2) | instid1(VALU_DEP_4)
	v_add_f64 v[12:13], v[12:13], v[10:11]
	v_fma_f64 v[10:11], v[140:141], s[16:17], -v[224:225]
	v_mul_f64 v[224:225], v[142:143], s[46:47]
	v_add_f64 v[2:3], v[6:7], v[4:5]
	v_fma_f64 v[4:5], v[136:137], s[16:17], -v[226:227]
	v_mul_f64 v[226:227], v[138:139], s[46:47]
	s_delay_alu instid0(VALU_DEP_2)
	v_add_f64 v[0:1], v[4:5], v[222:223]
	scratch_store_b128 off, v[0:3], off offset:140 ; 16-byte Folded Spill
	v_add_f64 v[0:1], v[14:15], v[12:13]
	v_fma_f64 v[12:13], v[110:111], s[18:19], v[152:153]
	v_fma_f64 v[14:15], v[108:109], s[18:19], -v[154:155]
	v_fma_f64 v[152:153], v[110:111], s[18:19], -v[152:153]
	v_fma_f64 v[154:155], v[108:109], s[18:19], v[154:155]
	v_add_f64 v[2:3], v[10:11], v[8:9]
	v_mul_f64 v[8:9], v[124:125], s[38:39]
	v_add_f64 v[12:13], v[12:13], v[162:163]
	v_add_f64 v[14:15], v[14:15], v[190:191]
	;; [unrolled: 1-line block ×4, first 2 shown]
	scratch_store_b128 off, v[0:3], off offset:156 ; 16-byte Folded Spill
	v_mul_f64 v[204:205], v[118:119], s[38:39]
	v_fma_f64 v[6:7], v[24:25], s[2:3], v[8:9]
	v_add_f64 v[12:13], v[160:161], v[12:13]
	v_mul_f64 v[160:161], v[114:115], s[42:43]
	v_add_f64 v[152:153], v[158:159], v[152:153]
	s_delay_alu instid0(VALU_DEP_2) | instskip(SKIP_2) | instid1(VALU_DEP_3)
	v_fma_f64 v[162:163], v[112:113], s[16:17], -v[160:161]
	v_fma_f64 v[158:159], v[112:113], s[16:17], v[160:161]
	v_fma_f64 v[160:161], v[136:137], s[10:11], v[226:227]
	v_add_f64 v[14:15], v[162:163], v[14:15]
	v_mul_f64 v[162:163], v[122:123], s[50:51]
	s_delay_alu instid0(VALU_DEP_4) | instskip(NEXT) | instid1(VALU_DEP_2)
	v_add_f64 v[154:155], v[158:159], v[154:155]
	v_fma_f64 v[186:187], v[18:19], s[8:9], v[162:163]
	v_fma_f64 v[158:159], v[18:19], s[8:9], -v[162:163]
	s_delay_alu instid0(VALU_DEP_2) | instskip(SKIP_1) | instid1(VALU_DEP_3)
	v_add_f64 v[12:13], v[186:187], v[12:13]
	v_mul_f64 v[186:187], v[118:119], s[50:51]
	v_add_f64 v[152:153], v[158:159], v[152:153]
	s_delay_alu instid0(VALU_DEP_2) | instskip(SKIP_2) | instid1(VALU_DEP_3)
	v_fma_f64 v[188:189], v[16:17], s[8:9], -v[186:187]
	v_fma_f64 v[158:159], v[16:17], s[8:9], v[186:187]
	v_mul_f64 v[186:187], v[150:151], s[52:53]
	v_add_f64 v[14:15], v[188:189], v[14:15]
	v_mul_f64 v[188:189], v[126:127], s[28:29]
	s_delay_alu instid0(VALU_DEP_4) | instskip(NEXT) | instid1(VALU_DEP_2)
	v_add_f64 v[154:155], v[158:159], v[154:155]
	v_fma_f64 v[190:191], v[22:23], s[22:23], v[188:189]
	v_fma_f64 v[158:159], v[22:23], s[22:23], -v[188:189]
	v_mul_f64 v[188:189], v[148:149], s[52:53]
	s_delay_alu instid0(VALU_DEP_3) | instskip(SKIP_1) | instid1(VALU_DEP_4)
	v_add_f64 v[12:13], v[190:191], v[12:13]
	v_mul_f64 v[190:191], v[120:121], s[28:29]
	v_add_f64 v[152:153], v[158:159], v[152:153]
	s_delay_alu instid0(VALU_DEP_2) | instskip(SKIP_2) | instid1(VALU_DEP_3)
	v_fma_f64 v[202:203], v[20:21], s[22:23], -v[190:191]
	v_fma_f64 v[158:159], v[20:21], s[22:23], v[190:191]
	v_mul_f64 v[190:191], v[146:147], s[28:29]
	v_add_f64 v[14:15], v[202:203], v[14:15]
	v_mul_f64 v[202:203], v[144:145], s[30:31]
	s_delay_alu instid0(VALU_DEP_4) | instskip(NEXT) | instid1(VALU_DEP_4)
	v_add_f64 v[154:155], v[158:159], v[154:155]
	v_fma_f64 v[162:163], v[116:117], s[22:23], v[190:191]
	s_delay_alu instid0(VALU_DEP_3) | instskip(SKIP_2) | instid1(VALU_DEP_3)
	v_fma_f64 v[216:217], v[26:27], s[0:1], v[202:203]
	v_fma_f64 v[158:159], v[26:27], s[0:1], -v[202:203]
	v_mul_f64 v[202:203], v[122:123], s[38:39]
	v_add_f64 v[12:13], v[216:217], v[12:13]
	v_mul_f64 v[216:217], v[124:125], s[30:31]
	s_delay_alu instid0(VALU_DEP_4) | instskip(NEXT) | instid1(VALU_DEP_2)
	v_add_f64 v[152:153], v[158:159], v[152:153]
	v_fma_f64 v[218:219], v[24:25], s[0:1], -v[216:217]
	v_fma_f64 v[158:159], v[24:25], s[0:1], v[216:217]
	v_mul_f64 v[216:217], v[126:127], s[26:27]
	s_delay_alu instid0(VALU_DEP_3) | instskip(SKIP_1) | instid1(VALU_DEP_4)
	v_add_f64 v[14:15], v[218:219], v[14:15]
	v_mul_f64 v[218:219], v[134:135], s[34:35]
	v_add_f64 v[154:155], v[158:159], v[154:155]
	s_delay_alu instid0(VALU_DEP_2) | instskip(SKIP_2) | instid1(VALU_DEP_3)
	v_fma_f64 v[220:221], v[132:133], s[20:21], v[218:219]
	v_fma_f64 v[158:159], v[132:133], s[20:21], -v[218:219]
	v_mul_f64 v[218:219], v[120:121], s[26:27]
	v_add_f64 v[12:13], v[220:221], v[12:13]
	v_mul_f64 v[220:221], v[130:131], s[34:35]
	s_delay_alu instid0(VALU_DEP_4) | instskip(NEXT) | instid1(VALU_DEP_2)
	v_add_f64 v[152:153], v[158:159], v[152:153]
	v_fma_f64 v[222:223], v[128:129], s[20:21], -v[220:221]
	v_fma_f64 v[158:159], v[128:129], s[20:21], v[220:221]
	v_mul_f64 v[220:221], v[144:145], s[48:49]
	s_delay_alu instid0(VALU_DEP_3) | instskip(SKIP_1) | instid1(VALU_DEP_4)
	v_add_f64 v[222:223], v[222:223], v[14:15]
	v_fma_f64 v[14:15], v[140:141], s[10:11], v[224:225]
	v_add_f64 v[158:159], v[158:159], v[154:155]
	v_fma_f64 v[154:155], v[140:141], s[10:11], -v[224:225]
	v_mul_f64 v[224:225], v[134:135], s[30:31]
	s_delay_alu instid0(VALU_DEP_4) | instskip(SKIP_3) | instid1(VALU_DEP_3)
	v_add_f64 v[2:3], v[14:15], v[12:13]
	v_fma_f64 v[12:13], v[136:137], s[10:11], -v[226:227]
	v_mul_f64 v[226:227], v[130:131], s[30:31]
	v_mul_f64 v[14:15], v[124:125], s[24:25]
	v_add_f64 v[0:1], v[12:13], v[222:223]
	v_mul_f64 v[222:223], v[124:125], s[48:49]
	v_mul_f64 v[12:13], v[142:143], s[34:35]
	scratch_store_b128 off, v[0:3], off offset:204 ; 16-byte Folded Spill
	v_add_f64 v[0:1], v[160:161], v[158:159]
	v_fma_f64 v[158:159], v[110:111], s[10:11], v[186:187]
	v_fma_f64 v[160:161], v[108:109], s[10:11], -v[188:189]
	v_add_f64 v[2:3], v[154:155], v[152:153]
	v_mul_f64 v[154:155], v[150:151], s[42:43]
	v_mul_f64 v[152:153], v[142:143], s[30:31]
	v_fma_f64 v[10:11], v[140:141], s[20:21], -v[12:13]
	v_add_f64 v[158:159], v[158:159], v[164:165]
	v_add_f64 v[160:161], v[160:161], v[192:193]
	v_mul_f64 v[192:193], v[114:115], s[28:29]
	scratch_store_b128 off, v[0:3], off offset:252 ; 16-byte Folded Spill
	v_mul_f64 v[0:1], v[150:151], s[48:49]
	v_fma_f64 v[34:35], v[110:111], s[16:17], -v[154:155]
	v_fma_f64 v[30:31], v[140:141], s[0:1], -v[152:153]
	v_dual_mov_b32 v2, v96 :: v_dual_mov_b32 v3, v97
	v_dual_mov_b32 v4, v98 :: v_dual_mov_b32 v5, v99
	v_mul_f64 v[96:97], v[126:127], s[36:37]
	v_add_f64 v[158:159], v[162:163], v[158:159]
	v_fma_f64 v[162:163], v[112:113], s[22:23], -v[192:193]
	scratch_store_b64 off, v[0:1], off offset:292 ; 8-byte Folded Spill
	v_add_f64 v[34:35], v[34:35], v[166:167]
	v_fma_f64 v[98:99], v[22:23], s[18:19], -v[96:97]
	v_add_f64 v[160:161], v[162:163], v[160:161]
	v_fma_f64 v[162:163], v[18:19], s[2:3], v[202:203]
	s_delay_alu instid0(VALU_DEP_4) | instskip(SKIP_1) | instid1(VALU_DEP_3)
	v_add_f64 v[34:35], v[42:43], v[34:35]
	v_mul_f64 v[42:43], v[114:115], s[24:25]
	v_add_f64 v[158:159], v[162:163], v[158:159]
	v_fma_f64 v[162:163], v[16:17], s[2:3], -v[204:205]
	s_delay_alu instid0(VALU_DEP_4) | instskip(NEXT) | instid1(VALU_DEP_4)
	v_add_f64 v[34:35], v[46:47], v[34:35]
	v_fma_f64 v[166:167], v[112:113], s[8:9], v[42:43]
	v_mul_f64 v[46:47], v[118:119], s[30:31]
	s_delay_alu instid0(VALU_DEP_4) | instskip(SKIP_1) | instid1(VALU_DEP_4)
	v_add_f64 v[160:161], v[162:163], v[160:161]
	v_fma_f64 v[162:163], v[22:23], s[16:17], v[216:217]
	v_add_f64 v[38:39], v[166:167], v[38:39]
	s_delay_alu instid0(VALU_DEP_4) | instskip(NEXT) | instid1(VALU_DEP_3)
	v_fma_f64 v[166:167], v[16:17], s[0:1], v[46:47]
	v_add_f64 v[158:159], v[162:163], v[158:159]
	v_fma_f64 v[162:163], v[20:21], s[16:17], -v[218:219]
	s_delay_alu instid0(VALU_DEP_3) | instskip(NEXT) | instid1(VALU_DEP_2)
	v_add_f64 v[38:39], v[166:167], v[38:39]
	v_add_f64 v[160:161], v[162:163], v[160:161]
	v_fma_f64 v[162:163], v[26:27], s[20:21], v[220:221]
	s_delay_alu instid0(VALU_DEP_1) | instskip(SKIP_1) | instid1(VALU_DEP_1)
	v_add_f64 v[158:159], v[162:163], v[158:159]
	v_fma_f64 v[162:163], v[24:25], s[20:21], -v[222:223]
	v_add_f64 v[160:161], v[162:163], v[160:161]
	v_fma_f64 v[162:163], v[132:133], s[0:1], v[224:225]
	s_delay_alu instid0(VALU_DEP_1) | instskip(SKIP_1) | instid1(VALU_DEP_1)
	v_add_f64 v[158:159], v[162:163], v[158:159]
	v_fma_f64 v[162:163], v[128:129], s[0:1], -v[226:227]
	;; [unrolled: 5-line block ×3, first 2 shown]
	v_add_f64 v[158:159], v[158:159], v[162:163]
	v_fma_f64 v[162:163], v[110:111], s[20:21], -v[0:1]
	v_mul_f64 v[0:1], v[148:149], s[48:49]
	s_delay_alu instid0(VALU_DEP_2) | instskip(SKIP_3) | instid1(VALU_DEP_2)
	v_add_f64 v[162:163], v[162:163], v[168:169]
	scratch_store_b64 off, v[0:1], off offset:300 ; 8-byte Folded Spill
	v_fma_f64 v[164:165], v[108:109], s[20:21], v[0:1]
	v_mul_f64 v[0:1], v[146:147], s[36:37]
	v_add_f64 v[164:165], v[164:165], v[172:173]
	scratch_store_b64 off, v[0:1], off offset:308 ; 8-byte Folded Spill
	v_fma_f64 v[168:169], v[116:117], s[18:19], -v[0:1]
	v_mul_f64 v[0:1], v[114:115], s[36:37]
	s_delay_alu instid0(VALU_DEP_2) | instskip(SKIP_3) | instid1(VALU_DEP_2)
	v_add_f64 v[162:163], v[168:169], v[162:163]
	scratch_store_b64 off, v[0:1], off offset:316 ; 8-byte Folded Spill
	v_fma_f64 v[168:169], v[112:113], s[18:19], v[0:1]
	v_mul_f64 v[0:1], v[122:123], s[42:43]
	v_add_f64 v[164:165], v[168:169], v[164:165]
	scratch_store_b64 off, v[0:1], off offset:324 ; 8-byte Folded Spill
	;; [unrolled: 9-line block ×3, first 2 shown]
	v_fma_f64 v[168:169], v[22:23], s[10:11], -v[0:1]
	v_mul_f64 v[0:1], v[120:121], s[46:47]
	s_mov_b32 s47, 0x3fe0d888
	s_mov_b32 s46, s38
	s_delay_alu instid0(SALU_CYCLE_1) | instskip(NEXT) | instid1(VALU_DEP_3)
	v_mul_f64 v[48:49], v[126:127], s[46:47]
	v_add_f64 v[162:163], v[168:169], v[162:163]
	s_delay_alu instid0(VALU_DEP_3)
	v_fma_f64 v[168:169], v[20:21], s[10:11], v[0:1]
	scratch_store_b64 off, v[0:1], off offset:348 ; 8-byte Folded Spill
	v_mul_f64 v[0:1], v[134:135], s[38:39]
	v_fma_f64 v[50:51], v[22:23], s[2:3], -v[48:49]
	v_add_f64 v[164:165], v[168:169], v[164:165]
	v_fma_f64 v[168:169], v[26:27], s[8:9], -v[200:201]
	scratch_store_b64 off, v[0:1], off offset:356 ; 8-byte Folded Spill
	v_add_f64 v[34:35], v[50:51], v[34:35]
	v_mul_f64 v[50:51], v[120:121], s[46:47]
	v_add_f64 v[162:163], v[168:169], v[162:163]
	v_fma_f64 v[168:169], v[24:25], s[8:9], v[14:15]
	s_delay_alu instid0(VALU_DEP_4) | instskip(NEXT) | instid1(VALU_DEP_4)
	v_add_f64 v[34:35], v[54:55], v[34:35]
	v_fma_f64 v[166:167], v[20:21], s[2:3], v[50:51]
	v_mul_f64 v[54:55], v[124:125], s[52:53]
	s_delay_alu instid0(VALU_DEP_4) | instskip(SKIP_4) | instid1(VALU_DEP_4)
	v_add_f64 v[164:165], v[168:169], v[164:165]
	v_fma_f64 v[168:169], v[132:133], s[2:3], -v[0:1]
	v_mul_f64 v[0:1], v[144:145], s[38:39]
	v_add_f64 v[38:39], v[166:167], v[38:39]
	v_fma_f64 v[166:167], v[24:25], s[10:11], v[54:55]
	v_add_f64 v[162:163], v[168:169], v[162:163]
	v_fma_f64 v[168:169], v[128:129], s[2:3], v[184:185]
	s_delay_alu instid0(VALU_DEP_3) | instskip(NEXT) | instid1(VALU_DEP_2)
	v_add_f64 v[38:39], v[166:167], v[38:39]
	v_add_f64 v[168:169], v[168:169], v[164:165]
	s_delay_alu instid0(VALU_DEP_4)
	v_add_f64 v[164:165], v[30:31], v[162:163]
	v_dual_mov_b32 v28, v232 :: v_dual_mov_b32 v29, v233
	v_dual_mov_b32 v30, v234 :: v_dual_mov_b32 v31, v235
	;; [unrolled: 1-line block ×4, first 2 shown]
	v_mul_f64 v[56:57], v[134:135], s[44:45]
	v_fma_f64 v[162:163], v[136:137], s[0:1], v[102:103]
	s_delay_alu instid0(VALU_DEP_2) | instskip(NEXT) | instid1(VALU_DEP_2)
	v_fma_f64 v[58:59], v[132:133], s[18:19], -v[56:57]
	v_add_f64 v[162:163], v[162:163], v[168:169]
	s_delay_alu instid0(VALU_DEP_2)
	v_add_f64 v[34:35], v[58:59], v[34:35]
	v_mul_f64 v[58:59], v[130:131], s[44:45]
	s_mov_b32 s45, 0x3fc7851a
	s_mov_b32 s44, s30
	v_mul_f64 v[130:131], v[130:131], s[28:29]
	v_mul_f64 v[68:69], v[114:115], s[44:45]
	;; [unrolled: 1-line block ×4, first 2 shown]
	v_add_f64 v[168:169], v[62:63], v[34:35]
	v_fma_f64 v[166:167], v[128:129], s[18:19], v[58:59]
	v_mul_f64 v[34:35], v[138:139], s[40:41]
	v_fma_f64 v[70:71], v[112:113], s[0:1], v[68:69]
	s_delay_alu instid0(VALU_DEP_3) | instskip(NEXT) | instid1(VALU_DEP_3)
	v_add_f64 v[38:39], v[166:167], v[38:39]
	v_fma_f64 v[62:63], v[136:137], s[22:23], v[34:35]
	s_delay_alu instid0(VALU_DEP_3) | instskip(SKIP_1) | instid1(VALU_DEP_3)
	v_add_f64 v[66:67], v[70:71], v[66:67]
	v_mul_f64 v[70:71], v[122:123], s[52:53]
	v_add_f64 v[166:167], v[62:63], v[38:39]
	v_mul_f64 v[38:39], v[150:151], s[24:25]
	s_delay_alu instid0(VALU_DEP_4) | instskip(SKIP_2) | instid1(VALU_DEP_4)
	v_add_f64 v[66:67], v[74:75], v[66:67]
	v_mul_f64 v[74:75], v[126:127], s[34:35]
	v_mul_f64 v[126:127], v[126:127], s[30:31]
	v_fma_f64 v[62:63], v[110:111], s[8:9], -v[38:39]
	s_delay_alu instid0(VALU_DEP_4) | instskip(SKIP_2) | instid1(VALU_DEP_4)
	v_add_f64 v[66:67], v[78:79], v[66:67]
	v_mul_f64 v[78:79], v[144:145], s[28:29]
	v_mul_f64 v[144:145], v[144:145], s[26:27]
	v_add_f64 v[62:63], v[62:63], v[170:171]
	v_fma_f64 v[170:171], v[116:117], s[0:1], -v[198:199]
	v_add_f64 v[66:67], v[82:83], v[66:67]
	v_mul_f64 v[82:83], v[134:135], s[42:43]
	s_delay_alu instid0(VALU_DEP_3) | instskip(SKIP_1) | instid1(VALU_DEP_4)
	v_add_f64 v[62:63], v[170:171], v[62:63]
	v_fma_f64 v[170:171], v[18:19], s[10:11], -v[70:71]
	v_add_f64 v[66:67], v[86:87], v[66:67]
	v_mul_f64 v[86:87], v[142:143], s[38:39]
	s_delay_alu instid0(VALU_DEP_3) | instskip(SKIP_1) | instid1(VALU_DEP_1)
	v_add_f64 v[62:63], v[170:171], v[62:63]
	v_fma_f64 v[170:171], v[22:23], s[20:21], -v[74:75]
	v_add_f64 v[62:63], v[170:171], v[62:63]
	v_fma_f64 v[170:171], v[26:27], s[22:23], -v[78:79]
	s_delay_alu instid0(VALU_DEP_1) | instskip(SKIP_1) | instid1(VALU_DEP_1)
	v_add_f64 v[62:63], v[170:171], v[62:63]
	v_fma_f64 v[170:171], v[132:133], s[16:17], -v[82:83]
	v_add_f64 v[62:63], v[170:171], v[62:63]
	v_fma_f64 v[170:171], v[140:141], s[2:3], -v[86:87]
	s_delay_alu instid0(VALU_DEP_1) | instskip(SKIP_1) | instid1(VALU_DEP_1)
	v_add_f64 v[172:173], v[170:171], v[62:63]
	v_mul_f64 v[62:63], v[138:139], s[38:39]
	v_fma_f64 v[170:171], v[136:137], s[2:3], v[62:63]
	s_delay_alu instid0(VALU_DEP_1) | instskip(SKIP_1) | instid1(VALU_DEP_1)
	v_add_f64 v[170:171], v[170:171], v[66:67]
	v_mul_f64 v[66:67], v[150:151], s[30:31]
	v_fma_f64 v[174:175], v[110:111], s[0:1], -v[66:67]
	s_delay_alu instid0(VALU_DEP_1) | instskip(SKIP_1) | instid1(VALU_DEP_1)
	v_add_f64 v[174:175], v[174:175], v[214:215]
	v_mul_f64 v[214:215], v[148:149], s[30:31]
	v_fma_f64 v[176:177], v[108:109], s[0:1], v[214:215]
	s_delay_alu instid0(VALU_DEP_1) | instskip(SKIP_2) | instid1(VALU_DEP_3)
	v_add_f64 v[176:177], v[176:177], v[182:183]
	v_mul_f64 v[182:183], v[146:147], s[52:53]
	v_mul_f64 v[146:147], v[146:147], s[34:35]
	v_add_f64 v[90:91], v[90:91], v[176:177]
	s_delay_alu instid0(VALU_DEP_3) | instskip(NEXT) | instid1(VALU_DEP_1)
	v_fma_f64 v[100:101], v[116:117], s[10:11], -v[182:183]
	v_add_f64 v[100:101], v[100:101], v[174:175]
	s_delay_alu instid0(VALU_DEP_1) | instskip(SKIP_1) | instid1(VALU_DEP_2)
	v_add_f64 v[94:95], v[94:95], v[100:101]
	v_mul_f64 v[100:101], v[118:119], s[40:41]
	v_add_f64 v[94:95], v[98:99], v[94:95]
	s_delay_alu instid0(VALU_DEP_2) | instskip(SKIP_1) | instid1(VALU_DEP_2)
	v_fma_f64 v[174:175], v[16:17], s[22:23], v[100:101]
	v_mul_f64 v[98:99], v[120:121], s[36:37]
	v_add_f64 v[90:91], v[174:175], v[90:91]
	s_delay_alu instid0(VALU_DEP_2) | instskip(NEXT) | instid1(VALU_DEP_1)
	v_fma_f64 v[174:175], v[20:21], s[18:19], v[98:99]
	v_add_f64 v[90:91], v[174:175], v[90:91]
	v_fma_f64 v[174:175], v[26:27], s[2:3], -v[0:1]
	v_fma_f64 v[0:1], v[26:27], s[2:3], v[0:1]
	s_delay_alu instid0(VALU_DEP_3) | instskip(SKIP_1) | instid1(VALU_DEP_4)
	v_add_f64 v[6:7], v[6:7], v[90:91]
	v_mul_f64 v[90:91], v[134:135], s[50:51]
	v_add_f64 v[94:95], v[174:175], v[94:95]
	s_delay_alu instid0(VALU_DEP_2) | instskip(NEXT) | instid1(VALU_DEP_1)
	v_fma_f64 v[174:175], v[132:133], s[8:9], -v[90:91]
	v_add_f64 v[94:95], v[174:175], v[94:95]
	v_fma_f64 v[174:175], v[128:129], s[8:9], v[156:157]
	s_delay_alu instid0(VALU_DEP_2) | instskip(SKIP_1) | instid1(VALU_DEP_3)
	v_add_f64 v[176:177], v[10:11], v[94:95]
	v_mul_f64 v[10:11], v[138:139], s[34:35]
	v_add_f64 v[6:7], v[174:175], v[6:7]
	v_mul_f64 v[138:139], v[138:139], s[24:25]
	s_delay_alu instid0(VALU_DEP_3) | instskip(NEXT) | instid1(VALU_DEP_1)
	v_fma_f64 v[94:95], v[136:137], s[20:21], v[10:11]
	v_add_f64 v[174:175], v[94:95], v[6:7]
	v_mul_f64 v[6:7], v[150:151], s[46:47]
	v_fma_f64 v[150:151], v[116:117], s[20:21], -v[146:147]
	s_delay_alu instid0(VALU_DEP_2) | instskip(SKIP_1) | instid1(VALU_DEP_2)
	v_fma_f64 v[94:95], v[110:111], s[2:3], -v[6:7]
	v_fma_f64 v[6:7], v[110:111], s[2:3], v[6:7]
	v_add_f64 v[94:95], v[94:95], v[104:105]
	v_mul_f64 v[104:105], v[148:149], s[46:47]
	s_delay_alu instid0(VALU_DEP_2) | instskip(NEXT) | instid1(VALU_DEP_2)
	v_add_f64 v[94:95], v[150:151], v[94:95]
	v_fma_f64 v[148:149], v[108:109], s[2:3], v[104:105]
	v_fma_f64 v[150:151], v[112:113], s[20:21], v[114:115]
	s_delay_alu instid0(VALU_DEP_2) | instskip(SKIP_1) | instid1(VALU_DEP_2)
	v_add_f64 v[148:149], v[148:149], v[180:181]
	v_mul_f64 v[180:181], v[118:119], s[36:37]
	v_add_f64 v[148:149], v[150:151], v[148:149]
	v_mul_f64 v[150:151], v[122:123], s[36:37]
	s_delay_alu instid0(VALU_DEP_3) | instskip(NEXT) | instid1(VALU_DEP_2)
	v_fma_f64 v[118:119], v[16:17], s[18:19], v[180:181]
	v_fma_f64 v[122:123], v[18:19], s[18:19], -v[150:151]
	s_delay_alu instid0(VALU_DEP_2) | instskip(SKIP_1) | instid1(VALU_DEP_3)
	v_add_f64 v[118:119], v[118:119], v[148:149]
	v_mul_f64 v[148:149], v[120:121], s[30:31]
	v_add_f64 v[94:95], v[122:123], v[94:95]
	v_fma_f64 v[122:123], v[22:23], s[0:1], -v[126:127]
	s_delay_alu instid0(VALU_DEP_3) | instskip(NEXT) | instid1(VALU_DEP_2)
	v_fma_f64 v[120:121], v[20:21], s[0:1], v[148:149]
	v_add_f64 v[94:95], v[122:123], v[94:95]
	s_delay_alu instid0(VALU_DEP_2)
	v_add_f64 v[118:119], v[120:121], v[118:119]
	v_fma_f64 v[120:121], v[26:27], s[16:17], -v[144:145]
	v_mul_f64 v[122:123], v[124:125], s[26:27]
	v_mul_f64 v[124:125], v[134:135], s[28:29]
	;; [unrolled: 1-line block ×3, first 2 shown]
	scratch_load_b64 v[142:143], off, off offset:284 ; 8-byte Folded Reload
	v_add_f64 v[94:95], v[120:121], v[94:95]
	v_fma_f64 v[120:121], v[24:25], s[16:17], v[122:123]
	s_delay_alu instid0(VALU_DEP_1) | instskip(SKIP_1) | instid1(VALU_DEP_1)
	v_add_f64 v[118:119], v[120:121], v[118:119]
	v_fma_f64 v[120:121], v[132:133], s[22:23], -v[124:125]
	v_add_f64 v[94:95], v[120:121], v[94:95]
	v_fma_f64 v[120:121], v[128:129], s[22:23], v[130:131]
	s_delay_alu instid0(VALU_DEP_1) | instskip(SKIP_1) | instid1(VALU_DEP_1)
	v_add_f64 v[118:119], v[120:121], v[118:119]
	v_fma_f64 v[120:121], v[140:141], s[8:9], -v[134:135]
	v_add_f64 v[120:121], v[120:121], v[94:95]
	v_fma_f64 v[94:95], v[136:137], s[8:9], v[138:139]
	s_delay_alu instid0(VALU_DEP_1)
	v_add_f64 v[118:119], v[94:95], v[118:119]
	v_fma_f64 v[94:95], v[110:111], s[10:11], -v[186:187]
	v_fma_f64 v[186:187], v[136:137], s[18:19], v[32:33]
	scratch_load_b64 v[32:33], off, off offset:276 ; 8-byte Folded Reload
	s_waitcnt vmcnt(0)
	v_add_f64 v[6:7], v[6:7], v[32:33]
	scratch_load_b64 v[32:33], off, off offset:268 ; 8-byte Folded Reload
	v_add_f64 v[94:95], v[94:95], v[142:143]
	v_fma_f64 v[142:143], v[108:109], s[10:11], v[188:189]
	s_delay_alu instid0(VALU_DEP_1) | instskip(SKIP_1) | instid1(VALU_DEP_1)
	v_add_f64 v[142:143], v[142:143], v[178:179]
	v_fma_f64 v[178:179], v[116:117], s[22:23], -v[190:191]
	v_add_f64 v[94:95], v[178:179], v[94:95]
	v_fma_f64 v[178:179], v[112:113], s[22:23], v[192:193]
	s_delay_alu instid0(VALU_DEP_1) | instskip(SKIP_1) | instid1(VALU_DEP_1)
	v_add_f64 v[142:143], v[178:179], v[142:143]
	v_fma_f64 v[178:179], v[18:19], s[2:3], -v[202:203]
	;; [unrolled: 5-line block ×4, first 2 shown]
	v_add_f64 v[94:95], v[178:179], v[94:95]
	v_fma_f64 v[178:179], v[24:25], s[20:21], v[222:223]
	v_dual_mov_b32 v223, v209 :: v_dual_mov_b32 v220, v206
	v_dual_mov_b32 v222, v208 :: v_dual_mov_b32 v221, v207
	s_delay_alu instid0(VALU_DEP_3) | instskip(SKIP_1) | instid1(VALU_DEP_1)
	v_add_f64 v[142:143], v[178:179], v[142:143]
	v_fma_f64 v[178:179], v[132:133], s[0:1], -v[224:225]
	v_add_f64 v[94:95], v[178:179], v[94:95]
	v_fma_f64 v[178:179], v[128:129], s[0:1], v[226:227]
	v_dual_mov_b32 v227, v197 :: v_dual_mov_b32 v224, v194
	v_dual_mov_b32 v226, v196 :: v_dual_mov_b32 v225, v195
	s_delay_alu instid0(VALU_DEP_3) | instskip(SKIP_1) | instid1(VALU_DEP_2)
	v_add_f64 v[142:143], v[178:179], v[142:143]
	v_fma_f64 v[178:179], v[140:141], s[18:19], -v[36:37]
	v_add_f64 v[186:187], v[186:187], v[142:143]
	s_delay_alu instid0(VALU_DEP_2) | instskip(SKIP_3) | instid1(VALU_DEP_2)
	v_add_f64 v[188:189], v[178:179], v[94:95]
	v_fma_f64 v[94:95], v[108:109], s[2:3], -v[104:105]
	v_fma_f64 v[104:105], v[116:117], s[20:21], v[146:147]
	s_waitcnt vmcnt(0)
	v_add_f64 v[94:95], v[94:95], v[32:33]
	s_delay_alu instid0(VALU_DEP_2)
	v_add_f64 v[6:7], v[104:105], v[6:7]
	v_fma_f64 v[104:105], v[112:113], s[20:21], -v[114:115]
	scratch_load_b64 v[32:33], off, off offset:244 ; 8-byte Folded Reload
	v_fma_f64 v[114:115], v[136:137], s[8:9], -v[138:139]
	v_add_f64 v[94:95], v[104:105], v[94:95]
	v_fma_f64 v[104:105], v[18:19], s[18:19], v[150:151]
	s_delay_alu instid0(VALU_DEP_1) | instskip(SKIP_1) | instid1(VALU_DEP_1)
	v_add_f64 v[6:7], v[104:105], v[6:7]
	v_fma_f64 v[104:105], v[16:17], s[18:19], -v[180:181]
	v_add_f64 v[94:95], v[104:105], v[94:95]
	v_fma_f64 v[104:105], v[22:23], s[0:1], v[126:127]
	s_delay_alu instid0(VALU_DEP_1) | instskip(SKIP_1) | instid1(VALU_DEP_1)
	v_add_f64 v[6:7], v[104:105], v[6:7]
	;; [unrolled: 5-line block ×4, first 2 shown]
	v_fma_f64 v[104:105], v[128:129], s[22:23], -v[130:131]
	v_add_f64 v[94:95], v[104:105], v[94:95]
	v_fma_f64 v[104:105], v[140:141], s[8:9], v[134:135]
	s_delay_alu instid0(VALU_DEP_2) | instskip(NEXT) | instid1(VALU_DEP_2)
	v_add_f64 v[142:143], v[114:115], v[94:95]
	v_add_f64 v[144:145], v[104:105], v[6:7]
	v_fma_f64 v[6:7], v[110:111], s[0:1], v[66:67]
	v_fma_f64 v[66:67], v[116:117], s[10:11], v[182:183]
	s_waitcnt vmcnt(0)
	s_delay_alu instid0(VALU_DEP_2) | instskip(SKIP_3) | instid1(VALU_DEP_1)
	v_add_f64 v[6:7], v[6:7], v[32:33]
	scratch_load_b64 v[32:33], off, off offset:236 ; 8-byte Folded Reload
	v_add_f64 v[6:7], v[66:67], v[6:7]
	v_fma_f64 v[66:67], v[18:19], s[22:23], v[92:93]
	v_add_f64 v[6:7], v[66:67], v[6:7]
	v_fma_f64 v[66:67], v[22:23], s[18:19], v[96:97]
	s_delay_alu instid0(VALU_DEP_1) | instskip(SKIP_1) | instid1(VALU_DEP_2)
	v_add_f64 v[6:7], v[66:67], v[6:7]
	v_fma_f64 v[66:67], v[112:113], s[10:11], -v[88:89]
	v_add_f64 v[0:1], v[0:1], v[6:7]
	v_fma_f64 v[6:7], v[108:109], s[0:1], -v[214:215]
	s_waitcnt vmcnt(0)
	s_delay_alu instid0(VALU_DEP_1) | instskip(NEXT) | instid1(VALU_DEP_1)
	v_add_f64 v[6:7], v[6:7], v[32:33]
	v_add_f64 v[6:7], v[66:67], v[6:7]
	v_fma_f64 v[66:67], v[16:17], s[22:23], -v[100:101]
	s_delay_alu instid0(VALU_DEP_1)
	v_add_f64 v[6:7], v[66:67], v[6:7]
	v_fma_f64 v[66:67], v[20:21], s[18:19], -v[98:99]
	v_dual_mov_b32 v99, v5 :: v_dual_mov_b32 v98, v4
	v_dual_mov_b32 v97, v3 :: v_dual_mov_b32 v96, v2
	v_fma_f64 v[4:5], v[24:25], s[2:3], -v[8:9]
	v_fma_f64 v[2:3], v[140:141], s[20:21], v[12:13]
	scratch_load_b64 v[8:9], off, off offset:172 ; 8-byte Folded Reload
	v_add_f64 v[6:7], v[66:67], v[6:7]
	s_delay_alu instid0(VALU_DEP_1) | instskip(SKIP_1) | instid1(VALU_DEP_1)
	v_add_f64 v[4:5], v[4:5], v[6:7]
	v_fma_f64 v[6:7], v[132:133], s[8:9], v[90:91]
	v_add_f64 v[0:1], v[6:7], v[0:1]
	v_fma_f64 v[6:7], v[128:129], s[8:9], -v[156:157]
	v_mov_b32_e32 v156, v254
	s_delay_alu instid0(VALU_DEP_3) | instskip(NEXT) | instid1(VALU_DEP_3)
	v_add_f64 v[148:149], v[2:3], v[0:1]
	v_add_f64 v[4:5], v[6:7], v[4:5]
	v_fma_f64 v[6:7], v[136:137], s[20:21], -v[10:11]
	scratch_load_b64 v[2:3], off, off offset:228 ; 8-byte Folded Reload
	v_fma_f64 v[0:1], v[110:111], s[8:9], v[38:39]
	v_add_f64 v[146:147], v[6:7], v[4:5]
	scratch_load_b64 v[4:5], off, off offset:220 ; 8-byte Folded Reload
	v_fma_f64 v[6:7], v[136:137], s[2:3], -v[62:63]
	s_waitcnt vmcnt(1)
	v_add_f64 v[0:1], v[0:1], v[2:3]
	v_fma_f64 v[2:3], v[108:109], s[8:9], -v[64:65]
	s_waitcnt vmcnt(0)
	s_delay_alu instid0(VALU_DEP_1) | instskip(SKIP_1) | instid1(VALU_DEP_1)
	v_add_f64 v[2:3], v[2:3], v[4:5]
	v_fma_f64 v[4:5], v[116:117], s[0:1], v[198:199]
	v_add_f64 v[0:1], v[4:5], v[0:1]
	v_fma_f64 v[4:5], v[112:113], s[0:1], -v[68:69]
	s_delay_alu instid0(VALU_DEP_1) | instskip(SKIP_1) | instid1(VALU_DEP_1)
	v_add_f64 v[2:3], v[4:5], v[2:3]
	v_fma_f64 v[4:5], v[18:19], s[10:11], v[70:71]
	v_add_f64 v[0:1], v[4:5], v[0:1]
	v_fma_f64 v[4:5], v[16:17], s[10:11], -v[72:73]
	s_delay_alu instid0(VALU_DEP_1)
	v_add_f64 v[2:3], v[4:5], v[2:3]
	v_fma_f64 v[4:5], v[22:23], s[20:21], v[74:75]
	v_dual_mov_b32 v72, v245 :: v_dual_mov_b32 v73, v246
	v_dual_mov_b32 v74, v247 :: v_dual_mov_b32 v75, v248
	v_mov_b32_e32 v248, v213
	v_dual_mov_b32 v246, v211 :: v_dual_mov_b32 v247, v212
	v_mov_b32_e32 v245, v210
	v_add_f64 v[0:1], v[4:5], v[0:1]
	v_fma_f64 v[4:5], v[20:21], s[20:21], -v[76:77]
	s_delay_alu instid0(VALU_DEP_1) | instskip(SKIP_1) | instid1(VALU_DEP_1)
	v_add_f64 v[2:3], v[4:5], v[2:3]
	v_fma_f64 v[4:5], v[26:27], s[22:23], v[78:79]
	v_add_f64 v[0:1], v[4:5], v[0:1]
	v_fma_f64 v[4:5], v[24:25], s[22:23], -v[80:81]
	s_delay_alu instid0(VALU_DEP_1) | instskip(SKIP_1) | instid1(VALU_DEP_1)
	v_add_f64 v[2:3], v[4:5], v[2:3]
	v_fma_f64 v[4:5], v[132:133], s[16:17], v[82:83]
	v_add_f64 v[0:1], v[4:5], v[0:1]
	v_fma_f64 v[4:5], v[128:129], s[16:17], -v[84:85]
	s_delay_alu instid0(VALU_DEP_1) | instskip(SKIP_1) | instid1(VALU_DEP_2)
	v_add_f64 v[2:3], v[4:5], v[2:3]
	v_fma_f64 v[4:5], v[140:141], s[2:3], v[86:87]
	v_add_f64 v[178:179], v[6:7], v[2:3]
	scratch_load_b64 v[2:3], off, off offset:196 ; 8-byte Folded Reload
	v_add_f64 v[180:181], v[4:5], v[0:1]
	scratch_load_b64 v[4:5], off, off offset:188 ; 8-byte Folded Reload
	v_fma_f64 v[0:1], v[110:111], s[16:17], v[154:155]
	v_fma_f64 v[6:7], v[136:137], s[22:23], -v[34:35]
	s_waitcnt vmcnt(1)
	s_delay_alu instid0(VALU_DEP_2) | instskip(SKIP_2) | instid1(VALU_DEP_1)
	v_add_f64 v[0:1], v[0:1], v[2:3]
	v_fma_f64 v[2:3], v[108:109], s[16:17], -v[106:107]
	s_waitcnt vmcnt(0)
	v_add_f64 v[2:3], v[2:3], v[4:5]
	v_fma_f64 v[4:5], v[116:117], s[8:9], v[40:41]
	s_delay_alu instid0(VALU_DEP_1) | instskip(SKIP_1) | instid1(VALU_DEP_1)
	v_add_f64 v[0:1], v[4:5], v[0:1]
	v_fma_f64 v[4:5], v[112:113], s[8:9], -v[42:43]
	v_add_f64 v[2:3], v[4:5], v[2:3]
	v_fma_f64 v[4:5], v[18:19], s[0:1], v[44:45]
	s_delay_alu instid0(VALU_DEP_1) | instskip(SKIP_1) | instid1(VALU_DEP_1)
	v_add_f64 v[0:1], v[4:5], v[0:1]
	v_fma_f64 v[4:5], v[16:17], s[0:1], -v[46:47]
	;; [unrolled: 5-line block ×4, first 2 shown]
	v_add_f64 v[2:3], v[4:5], v[2:3]
	v_fma_f64 v[4:5], v[132:133], s[18:19], v[56:57]
	s_delay_alu instid0(VALU_DEP_1)
	v_add_f64 v[0:1], v[4:5], v[0:1]
	v_fma_f64 v[4:5], v[128:129], s[18:19], -v[58:59]
	v_dual_mov_b32 v56, v232 :: v_dual_mov_b32 v57, v233
	v_dual_mov_b32 v58, v234 :: v_dual_mov_b32 v59, v235
	v_mov_b32_e32 v235, v31
	v_dual_mov_b32 v233, v29 :: v_dual_mov_b32 v234, v30
	v_mov_b32_e32 v232, v28
	v_add_f64 v[2:3], v[4:5], v[2:3]
	v_fma_f64 v[4:5], v[140:141], s[22:23], v[60:61]
	s_delay_alu instid0(VALU_DEP_2) | instskip(NEXT) | instid1(VALU_DEP_2)
	v_add_f64 v[104:105], v[6:7], v[2:3]
	v_add_f64 v[106:107], v[4:5], v[0:1]
	s_clause 0x3
	scratch_load_b64 v[0:1], off, off offset:292
	scratch_load_b64 v[2:3], off, off offset:300
	;; [unrolled: 1-line block ×4, first 2 shown]
	s_waitcnt vmcnt(3)
	v_fma_f64 v[0:1], v[110:111], s[20:21], v[0:1]
	s_waitcnt vmcnt(2)
	v_fma_f64 v[2:3], v[108:109], s[20:21], -v[2:3]
	s_waitcnt vmcnt(1)
	s_delay_alu instid0(VALU_DEP_2)
	v_add_f64 v[0:1], v[0:1], v[6:7]
	scratch_load_b64 v[6:7], off, off offset:316 ; 8-byte Folded Reload
	v_add_f64 v[2:3], v[2:3], v[8:9]
	scratch_load_b64 v[8:9], off, off offset:324 ; 8-byte Folded Reload
	s_waitcnt vmcnt(2)
	v_fma_f64 v[4:5], v[116:117], s[18:19], v[4:5]
	s_delay_alu instid0(VALU_DEP_1)
	v_add_f64 v[0:1], v[4:5], v[0:1]
	scratch_load_b64 v[4:5], off, off offset:332 ; 8-byte Folded Reload
	s_waitcnt vmcnt(2)
	v_fma_f64 v[6:7], v[112:113], s[18:19], -v[6:7]
	s_waitcnt vmcnt(1)
	v_fma_f64 v[10:11], v[18:19], s[16:17], v[8:9]
	scratch_load_b64 v[8:9], off, off offset:348 ; 8-byte Folded Reload
	v_add_f64 v[2:3], v[6:7], v[2:3]
	scratch_load_b64 v[6:7], off, off offset:340 ; 8-byte Folded Reload
	v_add_f64 v[0:1], v[10:11], v[0:1]
	s_waitcnt vmcnt(2)
	v_fma_f64 v[4:5], v[16:17], s[16:17], -v[4:5]
	s_delay_alu instid0(VALU_DEP_1)
	v_add_f64 v[2:3], v[4:5], v[2:3]
	v_fma_f64 v[4:5], v[26:27], s[8:9], v[200:201]
	s_waitcnt vmcnt(1)
	v_fma_f64 v[10:11], v[20:21], s[10:11], -v[8:9]
	scratch_load_b64 v[8:9], off, off offset:356 ; 8-byte Folded Reload
	s_waitcnt vmcnt(1)
	v_fma_f64 v[6:7], v[22:23], s[10:11], v[6:7]
	v_add_f64 v[2:3], v[10:11], v[2:3]
	s_delay_alu instid0(VALU_DEP_2) | instskip(SKIP_1) | instid1(VALU_DEP_2)
	v_add_f64 v[0:1], v[6:7], v[0:1]
	v_fma_f64 v[6:7], v[24:25], s[8:9], -v[14:15]
	v_add_f64 v[0:1], v[4:5], v[0:1]
	v_fma_f64 v[4:5], v[128:129], s[2:3], -v[184:185]
	s_delay_alu instid0(VALU_DEP_3) | instskip(SKIP_1) | instid1(VALU_DEP_2)
	v_add_f64 v[2:3], v[6:7], v[2:3]
	v_fma_f64 v[6:7], v[140:141], s[0:1], v[152:153]
	v_add_f64 v[2:3], v[4:5], v[2:3]
	s_waitcnt vmcnt(0)
	v_fma_f64 v[10:11], v[132:133], s[2:3], v[8:9]
	v_fma_f64 v[8:9], v[136:137], s[0:1], -v[102:103]
	s_delay_alu instid0(VALU_DEP_2) | instskip(NEXT) | instid1(VALU_DEP_2)
	v_add_f64 v[0:1], v[10:11], v[0:1]
	v_add_f64 v[16:17], v[8:9], v[2:3]
	s_delay_alu instid0(VALU_DEP_2)
	v_add_f64 v[18:19], v[6:7], v[0:1]
	s_clause 0x1
	scratch_load_b32 v0, off, off offset:120
	scratch_load_b128 v[1:4], off, off offset:124
	s_waitcnt vmcnt(1)
	v_and_b32_e32 v0, 0xffff, v0
	s_delay_alu instid0(VALU_DEP_1)
	v_lshlrev_b32_e32 v0, 4, v0
	s_waitcnt vmcnt(0)
	ds_store_b128 v0, v[1:4]
	ds_store_b128 v0, v[162:165] offset:16
	ds_store_b128 v0, v[166:169] offset:32
	;; [unrolled: 1-line block ×6, first 2 shown]
	scratch_load_b128 v[1:4], off, off offset:252 ; 16-byte Folded Reload
	s_waitcnt vmcnt(0)
	ds_store_b128 v0, v[1:4] offset:112
	scratch_load_b128 v[1:4], off, off offset:156 ; 16-byte Folded Reload
	s_waitcnt vmcnt(0)
	ds_store_b128 v0, v[1:4] offset:128
	;; [unrolled: 3-line block ×4, first 2 shown]
	ds_store_b128 v0, v[158:161] offset:176
	ds_store_b128 v0, v[142:145] offset:192
	;; [unrolled: 1-line block ×6, first 2 shown]
.LBB0_13:
	s_or_b32 exec_lo, exec_lo, s33
	s_waitcnt lgkmcnt(0)
	s_waitcnt_vscnt null, 0x0
	s_barrier
	buffer_gl0_inv
	ds_load_b128 v[0:3], v255 offset:8160
	ds_load_b128 v[4:7], v255 offset:13600
	;; [unrolled: 1-line block ×4, first 2 shown]
	scratch_load_b128 v[60:63], off, off offset:8 ; 16-byte Folded Reload
	ds_load_b128 v[16:19], v255 offset:2720
	ds_load_b128 v[20:23], v255 offset:5440
	s_mov_b32 s8, 0x134454ff
	s_mov_b32 s9, 0xbfee6f0e
	;; [unrolled: 1-line block ×14, first 2 shown]
	s_waitcnt lgkmcnt(5)
	v_mul_f64 v[24:25], v[234:235], v[0:1]
	s_waitcnt lgkmcnt(4)
	v_mul_f64 v[26:27], v[242:243], v[4:5]
	;; [unrolled: 2-line block ×3, first 2 shown]
	v_mul_f64 v[34:35], v[234:235], v[2:3]
	s_waitcnt lgkmcnt(1)
	v_mul_f64 v[32:33], v[58:59], v[16:17]
	v_mul_f64 v[36:37], v[242:243], v[6:7]
	;; [unrolled: 1-line block ×4, first 2 shown]
	s_mov_b32 s23, 0xbfe9e377
	s_mov_b32 s22, s18
	v_fma_f64 v[42:43], v[232:233], v[2:3], -v[24:25]
	v_fma_f64 v[6:7], v[240:241], v[6:7], -v[26:27]
	;; [unrolled: 1-line block ×3, first 2 shown]
	ds_load_b128 v[24:27], v255 offset:10880
	ds_load_b128 v[100:103], v255 offset:16320
	;; [unrolled: 1-line block ×3, first 2 shown]
	s_waitcnt lgkmcnt(3)
	v_mul_f64 v[2:3], v[230:231], v[22:23]
	v_mul_f64 v[28:29], v[230:231], v[20:21]
	v_fma_f64 v[34:35], v[232:233], v[0:1], v[34:35]
	v_fma_f64 v[4:5], v[240:241], v[4:5], v[36:37]
	;; [unrolled: 1-line block ×3, first 2 shown]
	v_fma_f64 v[18:19], v[56:57], v[18:19], -v[32:33]
	v_fma_f64 v[16:17], v[56:57], v[16:17], v[54:55]
	s_waitcnt lgkmcnt(2)
	v_mul_f64 v[44:45], v[226:227], v[24:25]
	s_waitcnt lgkmcnt(1)
	v_mul_f64 v[46:47], v[222:223], v[102:103]
	s_waitcnt lgkmcnt(0)
	v_mul_f64 v[48:49], v[74:75], v[106:107]
	v_mul_f64 v[50:51], v[222:223], v[100:101]
	v_mul_f64 v[52:53], v[74:75], v[104:105]
	v_add_f64 v[66:67], v[6:7], -v[42:43]
	v_add_f64 v[0:1], v[6:7], v[10:11]
	v_add_f64 v[70:71], v[6:7], -v[10:11]
	v_fma_f64 v[20:21], v[228:229], v[20:21], v[2:3]
	v_fma_f64 v[22:23], v[228:229], v[22:23], -v[28:29]
	v_add_f64 v[84:85], v[34:35], -v[4:5]
	v_fma_f64 v[28:29], v[220:221], v[100:101], v[46:47]
	v_fma_f64 v[36:37], v[220:221], v[102:103], -v[50:51]
	v_fma_f64 v[38:39], v[72:73], v[106:107], -v[52:53]
	v_fma_f64 v[50:51], v[0:1], -0.5, v[18:19]
	ds_load_b128 v[0:3], v255
	s_waitcnt vmcnt(0) lgkmcnt(0)
	s_barrier
	buffer_gl0_inv
	v_add_f64 v[76:77], v[0:1], v[20:21]
	v_add_f64 v[82:83], v[2:3], v[22:23]
	;; [unrolled: 1-line block ×3, first 2 shown]
	v_add_f64 v[78:79], v[22:23], -v[38:39]
	v_add_f64 v[92:93], v[38:39], -v[36:37]
	v_add_f64 v[94:95], v[36:37], -v[38:39]
	v_mul_f64 v[30:31], v[62:63], v[12:13]
	v_mul_f64 v[40:41], v[62:63], v[14:15]
	v_add_f64 v[62:63], v[42:43], -v[6:7]
	s_delay_alu instid0(VALU_DEP_3) | instskip(SKIP_1) | instid1(VALU_DEP_4)
	v_fma_f64 v[14:15], v[60:61], v[14:15], -v[30:31]
	v_mul_f64 v[30:31], v[226:227], v[26:27]
	v_fma_f64 v[12:13], v[60:61], v[12:13], v[40:41]
	v_fma_f64 v[26:27], v[224:225], v[26:27], -v[44:45]
	v_add_f64 v[40:41], v[4:5], v[8:9]
	v_add_f64 v[32:33], v[42:43], v[14:15]
	v_fma_f64 v[24:25], v[224:225], v[24:25], v[30:31]
	v_fma_f64 v[30:31], v[72:73], v[104:105], v[48:49]
	v_add_f64 v[44:45], v[34:35], v[12:13]
	v_add_f64 v[46:47], v[34:35], -v[12:13]
	v_add_f64 v[48:49], v[4:5], -v[8:9]
	v_add_f64 v[56:57], v[26:27], v[36:37]
	v_add_f64 v[60:61], v[42:43], -v[14:15]
	v_add_f64 v[64:65], v[14:15], -v[10:11]
	v_add_f64 v[68:69], v[10:11], -v[14:15]
	v_fma_f64 v[40:41], v[40:41], -0.5, v[16:17]
	v_add_f64 v[86:87], v[12:13], -v[8:9]
	v_add_f64 v[88:89], v[8:9], -v[12:13]
	;; [unrolled: 1-line block ×5, first 2 shown]
	v_add_f64 v[26:27], v[82:83], v[26:27]
	v_fma_f64 v[32:33], v[32:33], -0.5, v[18:19]
	v_add_f64 v[52:53], v[24:25], v[28:29]
	v_add_f64 v[54:55], v[20:21], v[30:31]
	v_fma_f64 v[44:45], v[44:45], -0.5, v[16:17]
	v_fma_f64 v[72:73], v[46:47], s[0:1], v[50:51]
	v_fma_f64 v[50:51], v[46:47], s[8:9], v[50:51]
	v_add_f64 v[16:17], v[16:17], v[34:35]
	v_add_f64 v[18:19], v[18:19], v[42:43]
	v_add_f64 v[34:35], v[4:5], -v[34:35]
	v_fma_f64 v[56:57], v[56:57], -0.5, v[2:3]
	v_fma_f64 v[2:3], v[58:59], -0.5, v[2:3]
	v_add_f64 v[58:59], v[62:63], v[64:65]
	v_add_f64 v[62:63], v[66:67], v[68:69]
	v_fma_f64 v[64:65], v[60:61], s[8:9], v[40:41]
	v_fma_f64 v[40:41], v[60:61], s[0:1], v[40:41]
	v_add_f64 v[22:23], v[22:23], v[94:95]
	v_add_f64 v[26:27], v[26:27], v[36:37]
	v_fma_f64 v[74:75], v[48:49], s[8:9], v[32:33]
	v_fma_f64 v[32:33], v[48:49], s[0:1], v[32:33]
	v_fma_f64 v[42:43], v[52:53], -0.5, v[0:1]
	v_add_f64 v[52:53], v[20:21], -v[30:31]
	v_fma_f64 v[0:1], v[54:55], -0.5, v[0:1]
	v_add_f64 v[54:55], v[24:25], -v[28:29]
	v_fma_f64 v[66:67], v[70:71], s[0:1], v[44:45]
	v_fma_f64 v[44:45], v[70:71], s[8:9], v[44:45]
	;; [unrolled: 1-line block ×3, first 2 shown]
	v_add_f64 v[4:5], v[16:17], v[4:5]
	v_add_f64 v[6:7], v[18:19], v[6:7]
	;; [unrolled: 1-line block ×4, first 2 shown]
	v_fma_f64 v[64:65], v[70:71], s[16:17], v[64:65]
	v_fma_f64 v[40:41], v[70:71], s[2:3], v[40:41]
	v_add_f64 v[26:27], v[26:27], v[38:39]
	v_fma_f64 v[72:73], v[46:47], s[2:3], v[74:75]
	v_fma_f64 v[32:33], v[46:47], s[16:17], v[32:33]
	;; [unrolled: 1-line block ×3, first 2 shown]
	v_add_f64 v[48:49], v[20:21], -v[24:25]
	v_add_f64 v[20:21], v[24:25], -v[20:21]
	v_add_f64 v[24:25], v[76:77], v[24:25]
	v_add_f64 v[50:51], v[30:31], -v[28:29]
	v_fma_f64 v[18:19], v[78:79], s[8:9], v[42:43]
	v_fma_f64 v[42:43], v[78:79], s[0:1], v[42:43]
	v_fma_f64 v[82:83], v[52:53], s[0:1], v[56:57]
	v_fma_f64 v[84:85], v[54:55], s[8:9], v[2:3]
	v_fma_f64 v[2:3], v[54:55], s[0:1], v[2:3]
	v_fma_f64 v[66:67], v[60:61], s[16:17], v[66:67]
	v_fma_f64 v[44:45], v[60:61], s[2:3], v[44:45]
	v_fma_f64 v[60:61], v[58:59], s[10:11], v[68:69]
	v_add_f64 v[74:75], v[28:29], -v[30:31]
	v_fma_f64 v[76:77], v[80:81], s[0:1], v[0:1]
	v_fma_f64 v[56:57], v[52:53], s[8:9], v[56:57]
	;; [unrolled: 1-line block ×3, first 2 shown]
	v_add_f64 v[4:5], v[4:5], v[8:9]
	v_add_f64 v[6:7], v[6:7], v[10:11]
	v_fma_f64 v[68:69], v[62:63], s[10:11], v[72:73]
	v_fma_f64 v[32:33], v[62:63], s[10:11], v[32:33]
	;; [unrolled: 1-line block ×3, first 2 shown]
	v_add_f64 v[24:25], v[24:25], v[28:29]
	v_add_f64 v[48:49], v[48:49], v[50:51]
	;; [unrolled: 1-line block ×3, first 2 shown]
	v_fma_f64 v[8:9], v[80:81], s[16:17], v[18:19]
	v_fma_f64 v[10:11], v[80:81], s[2:3], v[42:43]
	;; [unrolled: 1-line block ×9, first 2 shown]
	v_mul_f64 v[44:45], v[60:61], s[16:17]
	v_mul_f64 v[60:61], v[60:61], s[18:19]
	v_add_f64 v[20:21], v[20:21], v[74:75]
	v_fma_f64 v[18:19], v[78:79], s[16:17], v[76:77]
	v_fma_f64 v[36:37], v[54:55], s[16:17], v[56:57]
	;; [unrolled: 1-line block ×3, first 2 shown]
	v_add_f64 v[4:5], v[4:5], v[12:13]
	v_add_f64 v[6:7], v[6:7], v[14:15]
	v_mul_f64 v[54:55], v[68:69], s[8:9]
	v_mul_f64 v[62:63], v[68:69], s[10:11]
	;; [unrolled: 1-line block ×6, first 2 shown]
	v_add_f64 v[24:25], v[24:25], v[30:31]
	v_fma_f64 v[30:31], v[48:49], s[10:11], v[8:9]
	v_fma_f64 v[38:39], v[48:49], s[10:11], v[10:11]
	;; [unrolled: 1-line block ×10, first 2 shown]
	v_add_f64 v[2:3], v[26:27], v[6:7]
	v_add_f64 v[6:7], v[26:27], -v[6:7]
	v_fma_f64 v[36:37], v[40:41], s[10:11], v[54:55]
	v_fma_f64 v[40:41], v[40:41], s[0:1], v[62:63]
	;; [unrolled: 1-line block ×6, first 2 shown]
	v_add_f64 v[0:1], v[24:25], v[4:5]
	v_add_f64 v[4:5], v[24:25], -v[4:5]
	v_add_f64 v[8:9], v[30:31], v[28:29]
	v_add_f64 v[10:11], v[66:67], v[52:53]
	v_add_f64 v[24:25], v[30:31], -v[28:29]
	v_add_f64 v[26:27], v[66:67], -v[52:53]
	v_add_f64 v[12:13], v[48:49], v[36:37]
	v_add_f64 v[14:15], v[42:43], v[40:41]
	;; [unrolled: 1-line block ×6, first 2 shown]
	v_add_f64 v[28:29], v[48:49], -v[36:37]
	v_add_f64 v[30:31], v[42:43], -v[40:41]
	;; [unrolled: 1-line block ×6, first 2 shown]
	ds_store_b128 v244, v[0:3]
	ds_store_b128 v244, v[8:11] offset:272
	ds_store_b128 v244, v[12:15] offset:544
	;; [unrolled: 1-line block ×9, first 2 shown]
	s_waitcnt lgkmcnt(0)
	s_barrier
	buffer_gl0_inv
	ds_load_b128 v[0:3], v255 offset:8160
	ds_load_b128 v[4:7], v255 offset:13600
	;; [unrolled: 1-line block ×4, first 2 shown]
	s_clause 0x3
	scratch_load_b128 v[72:75], off, off offset:56
	scratch_load_b128 v[76:79], off, off offset:72
	;; [unrolled: 1-line block ×4, first 2 shown]
	ds_load_b128 v[16:19], v255 offset:2720
	ds_load_b128 v[20:23], v255 offset:5440
	s_waitcnt lgkmcnt(1)
	v_mul_f64 v[36:37], v[98:99], v[16:17]
	v_mul_f64 v[62:63], v[98:99], v[18:19]
	s_delay_alu instid0(VALU_DEP_2) | instskip(NEXT) | instid1(VALU_DEP_2)
	v_fma_f64 v[18:19], v[96:97], v[18:19], -v[36:37]
	v_fma_f64 v[16:17], v[96:97], v[16:17], v[62:63]
	s_waitcnt vmcnt(3)
	v_mul_f64 v[24:25], v[74:75], v[0:1]
	s_waitcnt vmcnt(2)
	v_mul_f64 v[28:29], v[78:79], v[8:9]
	;; [unrolled: 2-line block ×4, first 2 shown]
	v_mul_f64 v[40:41], v[82:83], v[6:7]
	v_mul_f64 v[42:43], v[78:79], v[10:11]
	;; [unrolled: 1-line block ×4, first 2 shown]
	v_fma_f64 v[46:47], v[72:73], v[2:3], -v[24:25]
	v_fma_f64 v[10:11], v[76:77], v[10:11], -v[28:29]
	;; [unrolled: 1-line block ×4, first 2 shown]
	ds_load_b128 v[24:27], v255 offset:10880
	ds_load_b128 v[28:31], v255 offset:16320
	;; [unrolled: 1-line block ×3, first 2 shown]
	s_clause 0x1
	scratch_load_b128 v[68:71], off, off offset:40
	scratch_load_b128 v[64:67], off, off offset:24
	v_fma_f64 v[38:39], v[72:73], v[0:1], v[38:39]
	v_fma_f64 v[4:5], v[80:81], v[4:5], v[40:41]
	v_fma_f64 v[8:9], v[76:77], v[8:9], v[42:43]
	v_fma_f64 v[12:13], v[84:85], v[12:13], v[44:45]
	s_waitcnt lgkmcnt(1)
	v_mul_f64 v[54:55], v[251:252], v[30:31]
	s_waitcnt lgkmcnt(0)
	v_mul_f64 v[56:57], v[247:248], v[34:35]
	v_mul_f64 v[58:59], v[251:252], v[28:29]
	v_mul_f64 v[60:61], v[247:248], v[32:33]
	v_add_f64 v[0:1], v[6:7], v[10:11]
	v_add_f64 v[36:37], v[46:47], v[14:15]
	v_add_f64 v[62:63], v[46:47], -v[6:7]
	v_add_f64 v[84:85], v[38:39], -v[4:5]
	v_add_f64 v[40:41], v[4:5], v[8:9]
	v_add_f64 v[42:43], v[38:39], v[12:13]
	v_add_f64 v[44:45], v[38:39], -v[12:13]
	v_add_f64 v[86:87], v[12:13], -v[8:9]
	;; [unrolled: 1-line block ×3, first 2 shown]
	v_fma_f64 v[28:29], v[249:250], v[28:29], v[54:55]
	v_fma_f64 v[32:33], v[245:246], v[32:33], v[56:57]
	v_fma_f64 v[30:31], v[249:250], v[30:31], -v[58:59]
	v_fma_f64 v[34:35], v[245:246], v[34:35], -v[60:61]
	v_add_f64 v[60:61], v[46:47], -v[14:15]
	v_fma_f64 v[36:37], v[36:37], -0.5, v[18:19]
	v_fma_f64 v[40:41], v[40:41], -0.5, v[16:17]
	v_fma_f64 v[42:43], v[42:43], -0.5, v[16:17]
	v_add_f64 v[16:17], v[16:17], v[38:39]
	v_add_f64 v[38:39], v[4:5], -v[38:39]
	v_add_f64 v[92:93], v[34:35], -v[30:31]
	;; [unrolled: 1-line block ×3, first 2 shown]
	s_delay_alu instid0(VALU_DEP_3)
	v_add_f64 v[38:39], v[38:39], v[88:89]
	s_waitcnt vmcnt(1)
	v_mul_f64 v[2:3], v[70:71], v[22:23]
	v_mul_f64 v[48:49], v[70:71], v[20:21]
	s_waitcnt vmcnt(0)
	v_mul_f64 v[50:51], v[66:67], v[26:27]
	v_mul_f64 v[52:53], v[66:67], v[24:25]
	v_add_f64 v[66:67], v[6:7], -v[46:47]
	v_add_f64 v[70:71], v[6:7], -v[10:11]
	v_fma_f64 v[20:21], v[68:69], v[20:21], v[2:3]
	v_fma_f64 v[22:23], v[68:69], v[22:23], -v[48:49]
	v_fma_f64 v[24:25], v[64:65], v[24:25], v[50:51]
	v_fma_f64 v[26:27], v[64:65], v[26:27], -v[52:53]
	v_fma_f64 v[50:51], v[0:1], -0.5, v[18:19]
	v_add_f64 v[48:49], v[4:5], -v[8:9]
	v_add_f64 v[64:65], v[14:15], -v[10:11]
	;; [unrolled: 1-line block ×3, first 2 shown]
	ds_load_b128 v[0:3], v255
	v_add_f64 v[18:19], v[18:19], v[46:47]
	v_add_f64 v[4:5], v[16:17], v[4:5]
	;; [unrolled: 1-line block ×7, first 2 shown]
	v_fma_f64 v[72:73], v[44:45], s[0:1], v[50:51]
	v_fma_f64 v[74:75], v[48:49], s[8:9], v[36:37]
	;; [unrolled: 1-line block ×4, first 2 shown]
	s_waitcnt lgkmcnt(0)
	v_add_f64 v[76:77], v[0:1], v[20:21]
	v_add_f64 v[82:83], v[2:3], v[22:23]
	v_add_f64 v[78:79], v[22:23], -v[34:35]
	v_add_f64 v[80:81], v[26:27], -v[30:31]
	;; [unrolled: 1-line block ×4, first 2 shown]
	v_add_f64 v[6:7], v[18:19], v[6:7]
	v_add_f64 v[4:5], v[4:5], v[8:9]
	v_fma_f64 v[46:47], v[52:53], -0.5, v[0:1]
	v_add_f64 v[52:53], v[20:21], -v[32:33]
	v_fma_f64 v[0:1], v[54:55], -0.5, v[0:1]
	v_add_f64 v[54:55], v[24:25], -v[28:29]
	v_fma_f64 v[56:57], v[56:57], -0.5, v[2:3]
	v_fma_f64 v[2:3], v[58:59], -0.5, v[2:3]
	v_add_f64 v[58:59], v[62:63], v[64:65]
	v_add_f64 v[62:63], v[66:67], v[68:69]
	v_fma_f64 v[64:65], v[60:61], s[8:9], v[40:41]
	v_fma_f64 v[40:41], v[60:61], s[0:1], v[40:41]
	;; [unrolled: 1-line block ×8, first 2 shown]
	v_add_f64 v[48:49], v[20:21], -v[24:25]
	v_add_f64 v[20:21], v[24:25], -v[20:21]
	v_add_f64 v[24:25], v[76:77], v[24:25]
	v_add_f64 v[26:27], v[82:83], v[26:27]
	v_add_f64 v[50:51], v[32:33], -v[28:29]
	v_add_f64 v[74:75], v[28:29], -v[32:33]
	v_add_f64 v[6:7], v[6:7], v[10:11]
	v_add_f64 v[22:23], v[22:23], v[94:95]
	;; [unrolled: 1-line block ×3, first 2 shown]
	v_fma_f64 v[18:19], v[78:79], s[8:9], v[46:47]
	v_fma_f64 v[46:47], v[78:79], s[0:1], v[46:47]
	;; [unrolled: 1-line block ×16, first 2 shown]
	v_add_f64 v[24:25], v[24:25], v[28:29]
	v_add_f64 v[26:27], v[26:27], v[30:31]
	;; [unrolled: 1-line block ×6, first 2 shown]
	v_fma_f64 v[8:9], v[80:81], s[16:17], v[18:19]
	v_fma_f64 v[10:11], v[80:81], s[2:3], v[46:47]
	v_fma_f64 v[18:19], v[78:79], s[16:17], v[76:77]
	v_fma_f64 v[0:1], v[78:79], s[2:3], v[0:1]
	v_fma_f64 v[28:29], v[54:55], s[2:3], v[82:83]
	v_fma_f64 v[46:47], v[52:53], s[2:3], v[84:85]
	v_fma_f64 v[2:3], v[52:53], s[16:17], v[2:3]
	v_fma_f64 v[30:31], v[54:55], s[16:17], v[56:57]
	v_fma_f64 v[52:53], v[16:17], s[10:11], v[64:65]
	v_fma_f64 v[16:17], v[16:17], s[10:11], v[40:41]
	v_fma_f64 v[40:41], v[38:39], s[10:11], v[66:67]
	v_fma_f64 v[38:39], v[38:39], s[10:11], v[42:43]
	v_mul_f64 v[42:43], v[60:61], s[16:17]
	v_mul_f64 v[60:61], v[60:61], s[18:19]
	;; [unrolled: 1-line block ×8, first 2 shown]
	v_add_f64 v[24:25], v[24:25], v[32:33]
	v_add_f64 v[26:27], v[26:27], v[34:35]
	v_fma_f64 v[32:33], v[48:49], s[10:11], v[8:9]
	v_fma_f64 v[34:35], v[48:49], s[10:11], v[10:11]
	v_fma_f64 v[48:49], v[20:21], s[10:11], v[18:19]
	v_fma_f64 v[64:65], v[20:21], s[10:11], v[0:1]
	v_fma_f64 v[66:67], v[50:51], s[10:11], v[28:29]
	v_fma_f64 v[50:51], v[50:51], s[10:11], v[30:31]
	v_fma_f64 v[30:31], v[22:23], s[10:11], v[46:47]
	v_fma_f64 v[46:47], v[22:23], s[10:11], v[2:3]
	v_fma_f64 v[28:29], v[52:53], s[18:19], v[42:43]
	v_fma_f64 v[52:53], v[52:53], s[2:3], v[60:61]
	v_fma_f64 v[42:43], v[40:41], s[10:11], v[54:55]
	v_fma_f64 v[40:41], v[40:41], s[0:1], v[62:63]
	v_fma_f64 v[54:55], v[38:39], s[20:21], v[56:57]
	v_fma_f64 v[38:39], v[38:39], s[0:1], v[36:37]
	v_fma_f64 v[56:57], v[16:17], s[22:23], v[58:59]
	v_fma_f64 v[44:45], v[16:17], s[2:3], v[44:45]
	v_add_f64 v[0:1], v[24:25], v[4:5]
	v_add_f64 v[2:3], v[26:27], v[6:7]
	v_add_f64 v[4:5], v[24:25], -v[4:5]
	v_add_f64 v[6:7], v[26:27], -v[6:7]
	v_add_f64 v[8:9], v[32:33], v[28:29]
	v_add_f64 v[10:11], v[66:67], v[52:53]
	;; [unrolled: 1-line block ×8, first 2 shown]
	v_add_f64 v[24:25], v[32:33], -v[28:29]
	v_add_f64 v[26:27], v[66:67], -v[52:53]
	;; [unrolled: 1-line block ×8, first 2 shown]
	ds_store_b128 v255, v[0:3]
	ds_store_b128 v255, v[8:11] offset:2720
	ds_store_b128 v255, v[12:15] offset:5440
	;; [unrolled: 1-line block ×9, first 2 shown]
	s_waitcnt lgkmcnt(0)
	s_barrier
	buffer_gl0_inv
	s_and_b32 exec_lo, exec_lo, vcc_lo
	s_cbranch_execz .LBB0_15
; %bb.14:
	global_load_b128 v[0:3], v255, s[12:13]
	ds_load_b128 v[4:7], v255
	ds_load_b128 v[8:11], v255 offset:1600
	ds_load_b128 v[12:15], v255 offset:25600
	s_mov_b32 s0, 0xace01346
	s_mov_b32 s1, 0x3f434679
	s_mul_i32 s2, s5, 0x640
	s_mul_hi_u32 s3, s4, 0x640
	s_delay_alu instid0(SALU_CYCLE_1) | instskip(SKIP_1) | instid1(VALU_DEP_1)
	s_add_i32 s3, s3, s2
	v_add_co_u32 v22, s2, s12, v255
	v_add_co_ci_u32_e64 v23, null, s13, 0, s2
	s_waitcnt vmcnt(0) lgkmcnt(2)
	v_mul_f64 v[16:17], v[6:7], v[2:3]
	v_mul_f64 v[2:3], v[4:5], v[2:3]
	s_delay_alu instid0(VALU_DEP_2) | instskip(NEXT) | instid1(VALU_DEP_2)
	v_fma_f64 v[4:5], v[4:5], v[0:1], v[16:17]
	v_fma_f64 v[2:3], v[0:1], v[6:7], -v[2:3]
	scratch_load_b64 v[0:1], off, off       ; 8-byte Folded Reload
	v_mad_u64_u32 v[16:17], null, s4, v156, 0
	s_mulk_i32 s4, 0x640
	v_mul_f64 v[2:3], v[2:3], s[0:1]
	s_waitcnt vmcnt(0)
	v_mov_b32_e32 v19, v0
	v_mul_f64 v[0:1], v[4:5], s[0:1]
	s_delay_alu instid0(VALU_DEP_4) | instskip(NEXT) | instid1(VALU_DEP_3)
	v_mov_b32_e32 v5, v17
	v_mad_u64_u32 v[6:7], null, s6, v19, 0
	s_delay_alu instid0(VALU_DEP_1) | instskip(NEXT) | instid1(VALU_DEP_1)
	v_mov_b32_e32 v4, v7
	v_mad_u64_u32 v[17:18], null, s7, v19, v[4:5]
	s_delay_alu instid0(VALU_DEP_3) | instskip(NEXT) | instid1(VALU_DEP_2)
	v_mad_u64_u32 v[18:19], null, s5, v156, v[5:6]
	v_mov_b32_e32 v7, v17
	s_delay_alu instid0(VALU_DEP_2) | instskip(NEXT) | instid1(VALU_DEP_2)
	v_mov_b32_e32 v17, v18
	v_lshlrev_b64 v[4:5], 4, v[6:7]
	s_delay_alu instid0(VALU_DEP_2) | instskip(NEXT) | instid1(VALU_DEP_2)
	v_lshlrev_b64 v[6:7], 4, v[16:17]
	v_add_co_u32 v4, vcc_lo, s14, v4
	s_delay_alu instid0(VALU_DEP_3) | instskip(NEXT) | instid1(VALU_DEP_2)
	v_add_co_ci_u32_e32 v5, vcc_lo, s15, v5, vcc_lo
	v_add_co_u32 v4, vcc_lo, v4, v6
	s_delay_alu instid0(VALU_DEP_2) | instskip(NEXT) | instid1(VALU_DEP_2)
	v_add_co_ci_u32_e32 v5, vcc_lo, v5, v7, vcc_lo
	v_add_co_u32 v16, vcc_lo, v4, s4
	global_store_b128 v[4:5], v[0:3], off
	global_load_b128 v[0:3], v255, s[12:13] offset:1600
	v_add_co_ci_u32_e32 v17, vcc_lo, s3, v5, vcc_lo
	s_waitcnt vmcnt(0) lgkmcnt(1)
	v_mul_f64 v[6:7], v[10:11], v[2:3]
	v_mul_f64 v[2:3], v[8:9], v[2:3]
	s_delay_alu instid0(VALU_DEP_2) | instskip(NEXT) | instid1(VALU_DEP_2)
	v_fma_f64 v[6:7], v[8:9], v[0:1], v[6:7]
	v_fma_f64 v[2:3], v[0:1], v[10:11], -v[2:3]
	s_delay_alu instid0(VALU_DEP_2) | instskip(NEXT) | instid1(VALU_DEP_2)
	v_mul_f64 v[0:1], v[6:7], s[0:1]
	v_mul_f64 v[2:3], v[2:3], s[0:1]
	global_store_b128 v[16:17], v[0:3], off
	global_load_b128 v[0:3], v255, s[12:13] offset:3200
	ds_load_b128 v[4:7], v255 offset:3200
	ds_load_b128 v[8:11], v255 offset:4800
	s_waitcnt vmcnt(0) lgkmcnt(1)
	v_mul_f64 v[18:19], v[6:7], v[2:3]
	v_mul_f64 v[2:3], v[4:5], v[2:3]
	s_delay_alu instid0(VALU_DEP_2) | instskip(NEXT) | instid1(VALU_DEP_2)
	v_fma_f64 v[4:5], v[4:5], v[0:1], v[18:19]
	v_fma_f64 v[2:3], v[0:1], v[6:7], -v[2:3]
	s_delay_alu instid0(VALU_DEP_2) | instskip(NEXT) | instid1(VALU_DEP_2)
	v_mul_f64 v[0:1], v[4:5], s[0:1]
	v_mul_f64 v[2:3], v[2:3], s[0:1]
	v_add_co_u32 v4, vcc_lo, v16, s4
	v_add_co_ci_u32_e32 v5, vcc_lo, s3, v17, vcc_lo
	v_add_co_u32 v16, vcc_lo, 0x1000, v22
	v_add_co_ci_u32_e32 v17, vcc_lo, 0, v23, vcc_lo
	s_delay_alu instid0(VALU_DEP_4) | instskip(NEXT) | instid1(VALU_DEP_4)
	v_add_co_u32 v18, vcc_lo, v4, s4
	v_add_co_ci_u32_e32 v19, vcc_lo, s3, v5, vcc_lo
	global_store_b128 v[4:5], v[0:3], off
	global_load_b128 v[0:3], v[16:17], off offset:704
	s_waitcnt vmcnt(0) lgkmcnt(0)
	v_mul_f64 v[6:7], v[10:11], v[2:3]
	v_mul_f64 v[2:3], v[8:9], v[2:3]
	s_delay_alu instid0(VALU_DEP_2) | instskip(NEXT) | instid1(VALU_DEP_2)
	v_fma_f64 v[6:7], v[8:9], v[0:1], v[6:7]
	v_fma_f64 v[2:3], v[0:1], v[10:11], -v[2:3]
	s_delay_alu instid0(VALU_DEP_2) | instskip(NEXT) | instid1(VALU_DEP_2)
	v_mul_f64 v[0:1], v[6:7], s[0:1]
	v_mul_f64 v[2:3], v[2:3], s[0:1]
	global_store_b128 v[18:19], v[0:3], off
	global_load_b128 v[0:3], v[16:17], off offset:2304
	ds_load_b128 v[4:7], v255 offset:6400
	ds_load_b128 v[8:11], v255 offset:8000
	s_waitcnt vmcnt(0) lgkmcnt(1)
	v_mul_f64 v[20:21], v[6:7], v[2:3]
	v_mul_f64 v[2:3], v[4:5], v[2:3]
	s_delay_alu instid0(VALU_DEP_2) | instskip(NEXT) | instid1(VALU_DEP_2)
	v_fma_f64 v[4:5], v[4:5], v[0:1], v[20:21]
	v_fma_f64 v[2:3], v[0:1], v[6:7], -v[2:3]
	s_delay_alu instid0(VALU_DEP_2) | instskip(NEXT) | instid1(VALU_DEP_2)
	v_mul_f64 v[0:1], v[4:5], s[0:1]
	v_mul_f64 v[2:3], v[2:3], s[0:1]
	v_add_co_u32 v4, vcc_lo, v18, s4
	v_add_co_ci_u32_e32 v5, vcc_lo, s3, v19, vcc_lo
	global_store_b128 v[4:5], v[0:3], off
	global_load_b128 v[0:3], v[16:17], off offset:3904
	v_add_co_u32 v16, vcc_lo, v4, s4
	v_add_co_ci_u32_e32 v17, vcc_lo, s3, v5, vcc_lo
	v_add_co_u32 v18, vcc_lo, 0x2000, v22
	v_add_co_ci_u32_e32 v19, vcc_lo, 0, v23, vcc_lo
	s_waitcnt vmcnt(0) lgkmcnt(0)
	v_mul_f64 v[6:7], v[10:11], v[2:3]
	v_mul_f64 v[2:3], v[8:9], v[2:3]
	s_delay_alu instid0(VALU_DEP_2) | instskip(NEXT) | instid1(VALU_DEP_2)
	v_fma_f64 v[6:7], v[8:9], v[0:1], v[6:7]
	v_fma_f64 v[2:3], v[0:1], v[10:11], -v[2:3]
	s_delay_alu instid0(VALU_DEP_2) | instskip(NEXT) | instid1(VALU_DEP_2)
	v_mul_f64 v[0:1], v[6:7], s[0:1]
	v_mul_f64 v[2:3], v[2:3], s[0:1]
	global_store_b128 v[16:17], v[0:3], off
	global_load_b128 v[0:3], v[18:19], off offset:1408
	ds_load_b128 v[4:7], v255 offset:9600
	ds_load_b128 v[8:11], v255 offset:11200
	s_waitcnt vmcnt(0) lgkmcnt(1)
	v_mul_f64 v[20:21], v[6:7], v[2:3]
	v_mul_f64 v[2:3], v[4:5], v[2:3]
	s_delay_alu instid0(VALU_DEP_2) | instskip(NEXT) | instid1(VALU_DEP_2)
	v_fma_f64 v[4:5], v[4:5], v[0:1], v[20:21]
	v_fma_f64 v[2:3], v[0:1], v[6:7], -v[2:3]
	s_delay_alu instid0(VALU_DEP_2) | instskip(NEXT) | instid1(VALU_DEP_2)
	v_mul_f64 v[0:1], v[4:5], s[0:1]
	v_mul_f64 v[2:3], v[2:3], s[0:1]
	v_add_co_u32 v4, vcc_lo, v16, s4
	v_add_co_ci_u32_e32 v5, vcc_lo, s3, v17, vcc_lo
	s_delay_alu instid0(VALU_DEP_2) | instskip(NEXT) | instid1(VALU_DEP_2)
	v_add_co_u32 v16, vcc_lo, v4, s4
	v_add_co_ci_u32_e32 v17, vcc_lo, s3, v5, vcc_lo
	global_store_b128 v[4:5], v[0:3], off
	global_load_b128 v[0:3], v[18:19], off offset:3008
	v_add_co_u32 v18, vcc_lo, 0x3000, v22
	v_add_co_ci_u32_e32 v19, vcc_lo, 0, v23, vcc_lo
	s_waitcnt vmcnt(0) lgkmcnt(0)
	v_mul_f64 v[6:7], v[10:11], v[2:3]
	v_mul_f64 v[2:3], v[8:9], v[2:3]
	s_delay_alu instid0(VALU_DEP_2) | instskip(NEXT) | instid1(VALU_DEP_2)
	v_fma_f64 v[6:7], v[8:9], v[0:1], v[6:7]
	v_fma_f64 v[2:3], v[0:1], v[10:11], -v[2:3]
	s_delay_alu instid0(VALU_DEP_2) | instskip(NEXT) | instid1(VALU_DEP_2)
	v_mul_f64 v[0:1], v[6:7], s[0:1]
	v_mul_f64 v[2:3], v[2:3], s[0:1]
	global_store_b128 v[16:17], v[0:3], off
	global_load_b128 v[0:3], v[18:19], off offset:512
	ds_load_b128 v[4:7], v255 offset:12800
	ds_load_b128 v[8:11], v255 offset:14400
	s_waitcnt vmcnt(0) lgkmcnt(1)
	v_mul_f64 v[20:21], v[6:7], v[2:3]
	v_mul_f64 v[2:3], v[4:5], v[2:3]
	s_delay_alu instid0(VALU_DEP_2) | instskip(NEXT) | instid1(VALU_DEP_2)
	v_fma_f64 v[4:5], v[4:5], v[0:1], v[20:21]
	v_fma_f64 v[2:3], v[0:1], v[6:7], -v[2:3]
	s_delay_alu instid0(VALU_DEP_2) | instskip(NEXT) | instid1(VALU_DEP_2)
	v_mul_f64 v[0:1], v[4:5], s[0:1]
	v_mul_f64 v[2:3], v[2:3], s[0:1]
	v_add_co_u32 v4, vcc_lo, v16, s4
	v_add_co_ci_u32_e32 v5, vcc_lo, s3, v17, vcc_lo
	s_delay_alu instid0(VALU_DEP_2) | instskip(NEXT) | instid1(VALU_DEP_2)
	v_add_co_u32 v16, vcc_lo, v4, s4
	v_add_co_ci_u32_e32 v17, vcc_lo, s3, v5, vcc_lo
	global_store_b128 v[4:5], v[0:3], off
	global_load_b128 v[0:3], v[18:19], off offset:2112
	s_waitcnt vmcnt(0) lgkmcnt(0)
	v_mul_f64 v[6:7], v[10:11], v[2:3]
	v_mul_f64 v[2:3], v[8:9], v[2:3]
	s_delay_alu instid0(VALU_DEP_2) | instskip(NEXT) | instid1(VALU_DEP_2)
	v_fma_f64 v[6:7], v[8:9], v[0:1], v[6:7]
	v_fma_f64 v[2:3], v[0:1], v[10:11], -v[2:3]
	s_delay_alu instid0(VALU_DEP_2) | instskip(NEXT) | instid1(VALU_DEP_2)
	v_mul_f64 v[0:1], v[6:7], s[0:1]
	v_mul_f64 v[2:3], v[2:3], s[0:1]
	global_store_b128 v[16:17], v[0:3], off
	global_load_b128 v[0:3], v[18:19], off offset:3712
	ds_load_b128 v[4:7], v255 offset:16000
	ds_load_b128 v[8:11], v255 offset:17600
	s_waitcnt vmcnt(0) lgkmcnt(1)
	v_mul_f64 v[18:19], v[6:7], v[2:3]
	v_mul_f64 v[2:3], v[4:5], v[2:3]
	s_delay_alu instid0(VALU_DEP_2) | instskip(NEXT) | instid1(VALU_DEP_2)
	v_fma_f64 v[4:5], v[4:5], v[0:1], v[18:19]
	v_fma_f64 v[2:3], v[0:1], v[6:7], -v[2:3]
	s_delay_alu instid0(VALU_DEP_2) | instskip(NEXT) | instid1(VALU_DEP_2)
	v_mul_f64 v[0:1], v[4:5], s[0:1]
	v_mul_f64 v[2:3], v[2:3], s[0:1]
	v_add_co_u32 v4, vcc_lo, v16, s4
	v_add_co_ci_u32_e32 v5, vcc_lo, s3, v17, vcc_lo
	v_add_co_u32 v6, vcc_lo, 0x4000, v22
	v_add_co_ci_u32_e32 v7, vcc_lo, 0, v23, vcc_lo
	global_store_b128 v[4:5], v[0:3], off
	global_load_b128 v[0:3], v[6:7], off offset:1216
	s_waitcnt vmcnt(0) lgkmcnt(0)
	v_mul_f64 v[16:17], v[10:11], v[2:3]
	v_mul_f64 v[2:3], v[8:9], v[2:3]
	s_delay_alu instid0(VALU_DEP_2) | instskip(NEXT) | instid1(VALU_DEP_2)
	v_fma_f64 v[8:9], v[8:9], v[0:1], v[16:17]
	v_fma_f64 v[2:3], v[0:1], v[10:11], -v[2:3]
	v_add_co_u32 v16, vcc_lo, v4, s4
	v_add_co_ci_u32_e32 v17, vcc_lo, s3, v5, vcc_lo
	s_delay_alu instid0(VALU_DEP_4) | instskip(NEXT) | instid1(VALU_DEP_4)
	v_mul_f64 v[0:1], v[8:9], s[0:1]
	v_mul_f64 v[2:3], v[2:3], s[0:1]
	global_store_b128 v[16:17], v[0:3], off
	global_load_b128 v[0:3], v[6:7], off offset:2816
	ds_load_b128 v[4:7], v255 offset:19200
	ds_load_b128 v[8:11], v255 offset:20800
	s_waitcnt vmcnt(0) lgkmcnt(1)
	v_mul_f64 v[18:19], v[6:7], v[2:3]
	v_mul_f64 v[2:3], v[4:5], v[2:3]
	s_delay_alu instid0(VALU_DEP_2) | instskip(NEXT) | instid1(VALU_DEP_2)
	v_fma_f64 v[4:5], v[4:5], v[0:1], v[18:19]
	v_fma_f64 v[2:3], v[0:1], v[6:7], -v[2:3]
	s_delay_alu instid0(VALU_DEP_2) | instskip(NEXT) | instid1(VALU_DEP_2)
	v_mul_f64 v[0:1], v[4:5], s[0:1]
	v_mul_f64 v[2:3], v[2:3], s[0:1]
	v_add_co_u32 v4, vcc_lo, v16, s4
	v_add_co_ci_u32_e32 v5, vcc_lo, s3, v17, vcc_lo
	v_add_co_u32 v16, vcc_lo, 0x5000, v22
	v_add_co_ci_u32_e32 v17, vcc_lo, 0, v23, vcc_lo
	s_delay_alu instid0(VALU_DEP_4) | instskip(NEXT) | instid1(VALU_DEP_4)
	v_add_co_u32 v18, vcc_lo, v4, s4
	v_add_co_ci_u32_e32 v19, vcc_lo, s3, v5, vcc_lo
	global_store_b128 v[4:5], v[0:3], off
	global_load_b128 v[0:3], v[16:17], off offset:320
	s_waitcnt vmcnt(0) lgkmcnt(0)
	v_mul_f64 v[6:7], v[10:11], v[2:3]
	v_mul_f64 v[2:3], v[8:9], v[2:3]
	s_delay_alu instid0(VALU_DEP_2) | instskip(NEXT) | instid1(VALU_DEP_2)
	v_fma_f64 v[6:7], v[8:9], v[0:1], v[6:7]
	v_fma_f64 v[2:3], v[0:1], v[10:11], -v[2:3]
	s_delay_alu instid0(VALU_DEP_2) | instskip(NEXT) | instid1(VALU_DEP_2)
	v_mul_f64 v[0:1], v[6:7], s[0:1]
	v_mul_f64 v[2:3], v[2:3], s[0:1]
	global_store_b128 v[18:19], v[0:3], off
	global_load_b128 v[0:3], v[16:17], off offset:1920
	ds_load_b128 v[4:7], v255 offset:22400
	ds_load_b128 v[8:11], v255 offset:24000
	s_waitcnt vmcnt(0) lgkmcnt(1)
	v_mul_f64 v[20:21], v[6:7], v[2:3]
	v_mul_f64 v[2:3], v[4:5], v[2:3]
	s_delay_alu instid0(VALU_DEP_2) | instskip(NEXT) | instid1(VALU_DEP_2)
	v_fma_f64 v[4:5], v[4:5], v[0:1], v[20:21]
	v_fma_f64 v[2:3], v[0:1], v[6:7], -v[2:3]
	s_delay_alu instid0(VALU_DEP_2) | instskip(NEXT) | instid1(VALU_DEP_2)
	v_mul_f64 v[0:1], v[4:5], s[0:1]
	v_mul_f64 v[2:3], v[2:3], s[0:1]
	v_add_co_u32 v4, vcc_lo, v18, s4
	v_add_co_ci_u32_e32 v5, vcc_lo, s3, v19, vcc_lo
	global_store_b128 v[4:5], v[0:3], off
	global_load_b128 v[0:3], v[16:17], off offset:3520
	v_add_co_u32 v4, vcc_lo, v4, s4
	v_add_co_ci_u32_e32 v5, vcc_lo, s3, v5, vcc_lo
	s_waitcnt vmcnt(0) lgkmcnt(0)
	v_mul_f64 v[6:7], v[10:11], v[2:3]
	v_mul_f64 v[2:3], v[8:9], v[2:3]
	s_delay_alu instid0(VALU_DEP_2) | instskip(NEXT) | instid1(VALU_DEP_2)
	v_fma_f64 v[6:7], v[8:9], v[0:1], v[6:7]
	v_fma_f64 v[2:3], v[0:1], v[10:11], -v[2:3]
	s_delay_alu instid0(VALU_DEP_2) | instskip(NEXT) | instid1(VALU_DEP_2)
	v_mul_f64 v[0:1], v[6:7], s[0:1]
	v_mul_f64 v[2:3], v[2:3], s[0:1]
	v_add_co_u32 v6, vcc_lo, 0x6000, v22
	v_add_co_ci_u32_e32 v7, vcc_lo, 0, v23, vcc_lo
	global_store_b128 v[4:5], v[0:3], off
	global_load_b128 v[0:3], v[6:7], off offset:1024
	v_add_co_u32 v4, vcc_lo, v4, s4
	v_add_co_ci_u32_e32 v5, vcc_lo, s3, v5, vcc_lo
	s_waitcnt vmcnt(0)
	v_mul_f64 v[6:7], v[14:15], v[2:3]
	v_mul_f64 v[2:3], v[12:13], v[2:3]
	s_delay_alu instid0(VALU_DEP_2) | instskip(NEXT) | instid1(VALU_DEP_2)
	v_fma_f64 v[6:7], v[12:13], v[0:1], v[6:7]
	v_fma_f64 v[2:3], v[0:1], v[14:15], -v[2:3]
	s_delay_alu instid0(VALU_DEP_2) | instskip(NEXT) | instid1(VALU_DEP_2)
	v_mul_f64 v[0:1], v[6:7], s[0:1]
	v_mul_f64 v[2:3], v[2:3], s[0:1]
	global_store_b128 v[4:5], v[0:3], off
.LBB0_15:
	s_endpgm
	.section	.rodata,"a",@progbits
	.p2align	6, 0x0
	.amdhsa_kernel bluestein_single_back_len1700_dim1_dp_op_CI_CI
		.amdhsa_group_segment_fixed_size 27200
		.amdhsa_private_segment_fixed_size 640
		.amdhsa_kernarg_size 104
		.amdhsa_user_sgpr_count 15
		.amdhsa_user_sgpr_dispatch_ptr 0
		.amdhsa_user_sgpr_queue_ptr 0
		.amdhsa_user_sgpr_kernarg_segment_ptr 1
		.amdhsa_user_sgpr_dispatch_id 0
		.amdhsa_user_sgpr_private_segment_size 0
		.amdhsa_wavefront_size32 1
		.amdhsa_uses_dynamic_stack 0
		.amdhsa_enable_private_segment 1
		.amdhsa_system_sgpr_workgroup_id_x 1
		.amdhsa_system_sgpr_workgroup_id_y 0
		.amdhsa_system_sgpr_workgroup_id_z 0
		.amdhsa_system_sgpr_workgroup_info 0
		.amdhsa_system_vgpr_workitem_id 0
		.amdhsa_next_free_vgpr 256
		.amdhsa_next_free_sgpr 58
		.amdhsa_reserve_vcc 1
		.amdhsa_float_round_mode_32 0
		.amdhsa_float_round_mode_16_64 0
		.amdhsa_float_denorm_mode_32 3
		.amdhsa_float_denorm_mode_16_64 3
		.amdhsa_dx10_clamp 1
		.amdhsa_ieee_mode 1
		.amdhsa_fp16_overflow 0
		.amdhsa_workgroup_processor_mode 1
		.amdhsa_memory_ordered 1
		.amdhsa_forward_progress 0
		.amdhsa_shared_vgpr_count 0
		.amdhsa_exception_fp_ieee_invalid_op 0
		.amdhsa_exception_fp_denorm_src 0
		.amdhsa_exception_fp_ieee_div_zero 0
		.amdhsa_exception_fp_ieee_overflow 0
		.amdhsa_exception_fp_ieee_underflow 0
		.amdhsa_exception_fp_ieee_inexact 0
		.amdhsa_exception_int_div_zero 0
	.end_amdhsa_kernel
	.text
.Lfunc_end0:
	.size	bluestein_single_back_len1700_dim1_dp_op_CI_CI, .Lfunc_end0-bluestein_single_back_len1700_dim1_dp_op_CI_CI
                                        ; -- End function
	.section	.AMDGPU.csdata,"",@progbits
; Kernel info:
; codeLenInByte = 29048
; NumSgprs: 60
; NumVgprs: 256
; ScratchSize: 640
; MemoryBound: 0
; FloatMode: 240
; IeeeMode: 1
; LDSByteSize: 27200 bytes/workgroup (compile time only)
; SGPRBlocks: 7
; VGPRBlocks: 31
; NumSGPRsForWavesPerEU: 60
; NumVGPRsForWavesPerEU: 256
; Occupancy: 5
; WaveLimiterHint : 1
; COMPUTE_PGM_RSRC2:SCRATCH_EN: 1
; COMPUTE_PGM_RSRC2:USER_SGPR: 15
; COMPUTE_PGM_RSRC2:TRAP_HANDLER: 0
; COMPUTE_PGM_RSRC2:TGID_X_EN: 1
; COMPUTE_PGM_RSRC2:TGID_Y_EN: 0
; COMPUTE_PGM_RSRC2:TGID_Z_EN: 0
; COMPUTE_PGM_RSRC2:TIDIG_COMP_CNT: 0
	.text
	.p2alignl 7, 3214868480
	.fill 96, 4, 3214868480
	.type	__hip_cuid_f6de2f710023eb99,@object ; @__hip_cuid_f6de2f710023eb99
	.section	.bss,"aw",@nobits
	.globl	__hip_cuid_f6de2f710023eb99
__hip_cuid_f6de2f710023eb99:
	.byte	0                               ; 0x0
	.size	__hip_cuid_f6de2f710023eb99, 1

	.ident	"AMD clang version 19.0.0git (https://github.com/RadeonOpenCompute/llvm-project roc-6.4.0 25133 c7fe45cf4b819c5991fe208aaa96edf142730f1d)"
	.section	".note.GNU-stack","",@progbits
	.addrsig
	.addrsig_sym __hip_cuid_f6de2f710023eb99
	.amdgpu_metadata
---
amdhsa.kernels:
  - .args:
      - .actual_access:  read_only
        .address_space:  global
        .offset:         0
        .size:           8
        .value_kind:     global_buffer
      - .actual_access:  read_only
        .address_space:  global
        .offset:         8
        .size:           8
        .value_kind:     global_buffer
      - .actual_access:  read_only
        .address_space:  global
        .offset:         16
        .size:           8
        .value_kind:     global_buffer
      - .actual_access:  read_only
        .address_space:  global
        .offset:         24
        .size:           8
        .value_kind:     global_buffer
      - .actual_access:  read_only
        .address_space:  global
        .offset:         32
        .size:           8
        .value_kind:     global_buffer
      - .offset:         40
        .size:           8
        .value_kind:     by_value
      - .address_space:  global
        .offset:         48
        .size:           8
        .value_kind:     global_buffer
      - .address_space:  global
        .offset:         56
        .size:           8
        .value_kind:     global_buffer
      - .address_space:  global
        .offset:         64
        .size:           8
        .value_kind:     global_buffer
      - .address_space:  global
        .offset:         72
        .size:           8
        .value_kind:     global_buffer
      - .offset:         80
        .size:           4
        .value_kind:     by_value
      - .address_space:  global
        .offset:         88
        .size:           8
        .value_kind:     global_buffer
      - .address_space:  global
        .offset:         96
        .size:           8
        .value_kind:     global_buffer
    .group_segment_fixed_size: 27200
    .kernarg_segment_align: 8
    .kernarg_segment_size: 104
    .language:       OpenCL C
    .language_version:
      - 2
      - 0
    .max_flat_workgroup_size: 170
    .name:           bluestein_single_back_len1700_dim1_dp_op_CI_CI
    .private_segment_fixed_size: 640
    .sgpr_count:     60
    .sgpr_spill_count: 0
    .symbol:         bluestein_single_back_len1700_dim1_dp_op_CI_CI.kd
    .uniform_work_group_size: 1
    .uses_dynamic_stack: false
    .vgpr_count:     256
    .vgpr_spill_count: 223
    .wavefront_size: 32
    .workgroup_processor_mode: 1
amdhsa.target:   amdgcn-amd-amdhsa--gfx1100
amdhsa.version:
  - 1
  - 2
...

	.end_amdgpu_metadata
